;; amdgpu-corpus repo=ROCm/aiter kind=compiled arch=gfx1100 opt=O3
	.text
	.amdgcn_target "amdgcn-amd-amdhsa--gfx1100"
	.amdhsa_code_object_version 6
	.section	.text._ZN7ck_tileL11flush_cacheEv,"axG",@progbits,_ZN7ck_tileL11flush_cacheEv,comdat
	.globl	_ZN7ck_tileL11flush_cacheEv     ; -- Begin function _ZN7ck_tileL11flush_cacheEv
	.p2align	8
	.type	_ZN7ck_tileL11flush_cacheEv,@function
_ZN7ck_tileL11flush_cacheEv:            ; @_ZN7ck_tileL11flush_cacheEv
; %bb.0:
	;;#ASMSTART
	s_icache_inv 
	s_nop 0 
	s_nop 0 
	;; [unrolled: 1-line block ×16, first 2 shown]
	
	;;#ASMEND
	s_endpgm
	.section	.rodata,"a",@progbits
	.p2align	6, 0x0
	.amdhsa_kernel _ZN7ck_tileL11flush_cacheEv
		.amdhsa_group_segment_fixed_size 0
		.amdhsa_private_segment_fixed_size 0
		.amdhsa_kernarg_size 0
		.amdhsa_user_sgpr_count 15
		.amdhsa_user_sgpr_dispatch_ptr 0
		.amdhsa_user_sgpr_queue_ptr 0
		.amdhsa_user_sgpr_kernarg_segment_ptr 0
		.amdhsa_user_sgpr_dispatch_id 0
		.amdhsa_user_sgpr_private_segment_size 0
		.amdhsa_wavefront_size32 1
		.amdhsa_uses_dynamic_stack 0
		.amdhsa_enable_private_segment 0
		.amdhsa_system_sgpr_workgroup_id_x 1
		.amdhsa_system_sgpr_workgroup_id_y 0
		.amdhsa_system_sgpr_workgroup_id_z 0
		.amdhsa_system_sgpr_workgroup_info 0
		.amdhsa_system_vgpr_workitem_id 0
		.amdhsa_next_free_vgpr 1
		.amdhsa_next_free_sgpr 1
		.amdhsa_reserve_vcc 0
		.amdhsa_float_round_mode_32 0
		.amdhsa_float_round_mode_16_64 0
		.amdhsa_float_denorm_mode_32 3
		.amdhsa_float_denorm_mode_16_64 3
		.amdhsa_dx10_clamp 1
		.amdhsa_ieee_mode 1
		.amdhsa_fp16_overflow 0
		.amdhsa_workgroup_processor_mode 1
		.amdhsa_memory_ordered 1
		.amdhsa_forward_progress 0
		.amdhsa_shared_vgpr_count 0
		.amdhsa_exception_fp_ieee_invalid_op 0
		.amdhsa_exception_fp_denorm_src 0
		.amdhsa_exception_fp_ieee_div_zero 0
		.amdhsa_exception_fp_ieee_overflow 0
		.amdhsa_exception_fp_ieee_underflow 0
		.amdhsa_exception_fp_ieee_inexact 0
		.amdhsa_exception_int_div_zero 0
	.end_amdhsa_kernel
	.section	.text._ZN7ck_tileL11flush_cacheEv,"axG",@progbits,_ZN7ck_tileL11flush_cacheEv,comdat
.Lfunc_end0:
	.size	_ZN7ck_tileL11flush_cacheEv, .Lfunc_end0-_ZN7ck_tileL11flush_cacheEv
                                        ; -- End function
	.section	.AMDGPU.csdata,"",@progbits
; Kernel info:
; codeLenInByte = 344
; NumSgprs: 0
; NumVgprs: 0
; ScratchSize: 0
; MemoryBound: 0
; FloatMode: 240
; IeeeMode: 1
; LDSByteSize: 0 bytes/workgroup (compile time only)
; SGPRBlocks: 0
; VGPRBlocks: 0
; NumSGPRsForWavesPerEU: 1
; NumVGPRsForWavesPerEU: 1
; Occupancy: 16
; WaveLimiterHint : 0
; COMPUTE_PGM_RSRC2:SCRATCH_EN: 0
; COMPUTE_PGM_RSRC2:USER_SGPR: 15
; COMPUTE_PGM_RSRC2:TRAP_HANDLER: 0
; COMPUTE_PGM_RSRC2:TGID_X_EN: 1
; COMPUTE_PGM_RSRC2:TGID_Y_EN: 0
; COMPUTE_PGM_RSRC2:TGID_Z_EN: 0
; COMPUTE_PGM_RSRC2:TIDIG_COMP_CNT: 0
	.section	.text._ZN12_GLOBAL__N_128groupnorm_kernel_dispatch_upIfLj1024EEEvjjlbPKT_PfS4_,"axG",@progbits,_ZN12_GLOBAL__N_128groupnorm_kernel_dispatch_upIfLj1024EEEvjjlbPKT_PfS4_,comdat
	.globl	_ZN12_GLOBAL__N_128groupnorm_kernel_dispatch_upIfLj1024EEEvjjlbPKT_PfS4_ ; -- Begin function _ZN12_GLOBAL__N_128groupnorm_kernel_dispatch_upIfLj1024EEEvjjlbPKT_PfS4_
	.p2align	8
	.type	_ZN12_GLOBAL__N_128groupnorm_kernel_dispatch_upIfLj1024EEEvjjlbPKT_PfS4_,@function
_ZN12_GLOBAL__N_128groupnorm_kernel_dispatch_upIfLj1024EEEvjjlbPKT_PfS4_: ; @_ZN12_GLOBAL__N_128groupnorm_kernel_dispatch_upIfLj1024EEEvjjlbPKT_PfS4_
; %bb.0:
	s_load_b32 s12, s[0:1], 0x30
	s_add_u32 s2, s0, 48
	s_addc_u32 s3, s1, 0
	v_mov_b32_e32 v1, 0
	s_mov_b32 s10, 0
	s_waitcnt lgkmcnt(0)
	s_cmp_lt_u32 s14, s12
	s_cselect_b32 s4, 12, 18
	s_delay_alu instid0(SALU_CYCLE_1)
	s_add_u32 s4, s2, s4
	s_addc_u32 s5, s3, 0
	global_load_u16 v1, v1, s[4:5]
	s_load_b128 s[4:7], s[0:1], 0x0
	s_waitcnt lgkmcnt(0)
	s_mul_i32 s7, s5, s7
	s_mul_hi_u32 s8, s5, s6
	s_mul_i32 s5, s5, s6
	s_add_i32 s11, s8, s7
	s_delay_alu instid0(SALU_CYCLE_1)
	s_cmp_lg_u64 s[10:11], 0
	s_cbranch_scc0 .LBB1_26
; %bb.1:
	v_cvt_f32_ubyte0_e32 v2, 0
	v_cvt_f32_u32_e32 v3, s4
	s_sub_u32 s8, 0, s4
	s_subb_u32 s9, 0, 0
	s_delay_alu instid0(VALU_DEP_1) | instskip(NEXT) | instid1(VALU_DEP_1)
	v_fmamk_f32 v2, v2, 0x4f800000, v3
	v_rcp_f32_e32 v2, v2
	s_waitcnt_depctr 0xfff
	v_mul_f32_e32 v2, 0x5f7ffffc, v2
	s_delay_alu instid0(VALU_DEP_1) | instskip(NEXT) | instid1(VALU_DEP_1)
	v_mul_f32_e32 v3, 0x2f800000, v2
	v_trunc_f32_e32 v3, v3
	s_delay_alu instid0(VALU_DEP_1) | instskip(SKIP_1) | instid1(VALU_DEP_2)
	v_fmamk_f32 v2, v3, 0xcf800000, v2
	v_cvt_u32_f32_e32 v3, v3
	v_cvt_u32_f32_e32 v2, v2
	s_delay_alu instid0(VALU_DEP_2) | instskip(NEXT) | instid1(VALU_DEP_2)
	v_readfirstlane_b32 s6, v3
	v_readfirstlane_b32 s7, v2
	s_delay_alu instid0(VALU_DEP_2) | instskip(NEXT) | instid1(VALU_DEP_1)
	s_mul_i32 s13, s8, s6
	s_mul_hi_u32 s17, s8, s7
	s_mul_i32 s16, s9, s7
	s_add_i32 s13, s17, s13
	s_mul_i32 s18, s8, s7
	s_add_i32 s13, s13, s16
	s_mul_hi_u32 s17, s7, s18
	s_mul_hi_u32 s19, s6, s18
	s_mul_i32 s16, s6, s18
	s_mul_hi_u32 s18, s7, s13
	s_mul_i32 s7, s7, s13
	s_mul_hi_u32 s20, s6, s13
	s_add_u32 s7, s17, s7
	s_addc_u32 s17, 0, s18
	s_add_u32 s7, s7, s16
	s_mul_i32 s13, s6, s13
	s_addc_u32 s7, s17, s19
	s_addc_u32 s16, s20, 0
	s_add_u32 s7, s7, s13
	s_addc_u32 s13, 0, s16
	v_add_co_u32 v2, s7, v2, s7
	s_delay_alu instid0(VALU_DEP_1) | instskip(SKIP_1) | instid1(VALU_DEP_1)
	s_cmp_lg_u32 s7, 0
	s_addc_u32 s6, s6, s13
	v_readfirstlane_b32 s7, v2
	s_mul_i32 s13, s8, s6
	s_delay_alu instid0(VALU_DEP_1)
	s_mul_hi_u32 s16, s8, s7
	s_mul_i32 s9, s9, s7
	s_add_i32 s13, s16, s13
	s_mul_i32 s8, s8, s7
	s_add_i32 s13, s13, s9
	s_mul_hi_u32 s16, s6, s8
	s_mul_i32 s17, s6, s8
	s_mul_hi_u32 s8, s7, s8
	s_mul_hi_u32 s18, s7, s13
	s_mul_i32 s7, s7, s13
	s_mul_hi_u32 s9, s6, s13
	s_add_u32 s7, s8, s7
	s_addc_u32 s8, 0, s18
	s_add_u32 s7, s7, s17
	s_mul_i32 s13, s6, s13
	s_addc_u32 s7, s8, s16
	s_addc_u32 s8, s9, 0
	s_add_u32 s7, s7, s13
	s_addc_u32 s8, 0, s8
	v_add_co_u32 v2, s7, v2, s7
	s_delay_alu instid0(VALU_DEP_1) | instskip(SKIP_2) | instid1(SALU_CYCLE_1)
	s_cmp_lg_u32 s7, 0
	s_addc_u32 s13, s6, s8
	s_ashr_i32 s6, s11, 31
	s_add_u32 s8, s5, s6
	s_addc_u32 s9, s11, s6
	v_readfirstlane_b32 s11, v2
	s_mov_b32 s7, s6
	s_delay_alu instid0(SALU_CYCLE_1) | instskip(NEXT) | instid1(SALU_CYCLE_1)
	s_xor_b64 s[8:9], s[8:9], s[6:7]
	s_mul_i32 s17, s8, s13
	s_delay_alu instid0(VALU_DEP_1)
	s_mul_hi_u32 s18, s8, s11
	s_mul_hi_u32 s16, s8, s13
	;; [unrolled: 1-line block ×3, first 2 shown]
	s_mul_i32 s11, s9, s11
	s_add_u32 s17, s18, s17
	s_addc_u32 s16, 0, s16
	s_mul_hi_u32 s19, s9, s13
	s_add_u32 s11, s17, s11
	s_mul_i32 s13, s9, s13
	s_addc_u32 s11, s16, s20
	s_addc_u32 s16, s19, 0
	s_add_u32 s11, s11, s13
	s_addc_u32 s13, 0, s16
	s_mul_i32 s17, s4, s11
	s_add_u32 s16, s11, 1
	v_sub_co_u32 v2, s8, s8, s17
	s_mul_hi_u32 s17, s4, s11
	s_addc_u32 s18, s13, 0
	s_mul_i32 s19, s4, s13
	s_delay_alu instid0(VALU_DEP_1)
	v_sub_co_u32 v3, s20, v2, s4
	s_add_u32 s21, s11, 2
	s_addc_u32 s22, s13, 0
	s_add_i32 s17, s17, s19
	s_cmp_lg_u32 s8, 0
	v_readfirstlane_b32 s8, v3
	s_subb_u32 s9, s9, s17
	s_cmp_lg_u32 s20, 0
	s_subb_u32 s17, s9, 0
	s_delay_alu instid0(VALU_DEP_1) | instskip(SKIP_4) | instid1(SALU_CYCLE_1)
	s_cmp_ge_u32 s8, s4
	s_cselect_b32 s8, -1, 0
	s_cmp_eq_u32 s17, 0
	v_readfirstlane_b32 s17, v2
	s_cselect_b32 s8, s8, -1
	s_cmp_lg_u32 s8, 0
	s_cselect_b32 s8, s21, s16
	s_cselect_b32 s16, s22, s18
	s_cmp_ge_u32 s17, s4
	s_cselect_b32 s17, -1, 0
	s_cmp_eq_u32 s9, 0
	s_cselect_b32 s9, s17, -1
	s_delay_alu instid0(SALU_CYCLE_1) | instskip(SKIP_2) | instid1(SALU_CYCLE_1)
	s_cmp_lg_u32 s9, 0
	s_cselect_b32 s9, s16, s13
	s_cselect_b32 s8, s8, s11
	s_xor_b64 s[8:9], s[8:9], s[6:7]
	s_delay_alu instid0(SALU_CYCLE_1)
	s_sub_u32 s8, s8, s6
	s_and_not1_b32 vcc_lo, exec_lo, s10
	s_cbranch_vccnz .LBB1_3
.LBB1_2:
	v_cvt_f32_u32_e32 v2, s4
	s_sub_i32 s7, 0, s4
	s_delay_alu instid0(VALU_DEP_1) | instskip(SKIP_2) | instid1(VALU_DEP_1)
	v_rcp_iflag_f32_e32 v2, v2
	s_waitcnt_depctr 0xfff
	v_mul_f32_e32 v2, 0x4f7ffffe, v2
	v_cvt_u32_f32_e32 v2, v2
	s_delay_alu instid0(VALU_DEP_1) | instskip(NEXT) | instid1(VALU_DEP_1)
	v_readfirstlane_b32 s6, v2
	s_mul_i32 s7, s7, s6
	s_delay_alu instid0(SALU_CYCLE_1) | instskip(NEXT) | instid1(SALU_CYCLE_1)
	s_mul_hi_u32 s7, s6, s7
	s_add_i32 s6, s6, s7
	s_delay_alu instid0(SALU_CYCLE_1) | instskip(NEXT) | instid1(SALU_CYCLE_1)
	s_mul_hi_u32 s6, s5, s6
	s_mul_i32 s7, s6, s4
	s_delay_alu instid0(SALU_CYCLE_1)
	s_sub_i32 s5, s5, s7
	s_add_i32 s7, s6, 1
	s_sub_i32 s8, s5, s4
	s_cmp_ge_u32 s5, s4
	s_cselect_b32 s6, s7, s6
	s_cselect_b32 s5, s8, s5
	s_add_i32 s7, s6, 1
	s_cmp_ge_u32 s5, s4
	s_cselect_b32 s8, s7, s6
.LBB1_3:
	s_clause 0x1
	s_load_b32 s9, s[0:1], 0x10
	s_load_b128 s[4:7], s[0:1], 0x18
	s_waitcnt vmcnt(0)
	v_and_b32_e32 v3, 0xffff, v1
	s_delay_alu instid0(VALU_DEP_1) | instskip(SKIP_3) | instid1(SALU_CYCLE_1)
	v_mad_u64_u32 v[1:2], null, s14, v3, v[0:1]
	s_waitcnt lgkmcnt(0)
	s_bitcmp1_b32 s9, 0
	s_cselect_b32 s9, -1, 0
	s_and_b32 vcc_lo, exec_lo, s9
	s_cbranch_vccnz .LBB1_9
; %bb.4:
	v_dual_mov_b32 v4, 0 :: v_dual_mov_b32 v5, 0
	s_mov_b32 s9, 0
	s_mov_b32 s10, exec_lo
	v_cmpx_gt_u32_e64 s8, v1
	s_cbranch_execz .LBB1_8
; %bb.5:
	s_load_b32 s11, s[2:3], 0x10
	v_dual_mov_b32 v4, 0 :: v_dual_mov_b32 v3, 0
	v_dual_mov_b32 v5, 0 :: v_dual_mov_b32 v6, v1
	s_waitcnt lgkmcnt(0)
	s_lshr_b32 s13, s11, 16
	s_mul_i32 s11, s15, s8
	s_cmp_lg_u32 s13, 0
	s_cselect_b32 s13, -1, 0
	s_delay_alu instid0(SALU_CYCLE_1) | instskip(SKIP_2) | instid1(SALU_CYCLE_1)
	s_cmp_lg_u32 s13, 0
	s_mov_b32 s13, 0
	s_addc_u32 s16, s12, 0
	s_lshl_b32 s16, s16, 10
.LBB1_6:                                ; =>This Inner Loop Header: Depth=1
	v_add_nc_u32_e32 v2, s11, v6
	v_add_nc_u32_e32 v6, s16, v6
	s_delay_alu instid0(VALU_DEP_2) | instskip(NEXT) | instid1(VALU_DEP_1)
	v_lshlrev_b64 v[7:8], 2, v[2:3]
	v_add_co_u32 v7, vcc_lo, s4, v7
	s_delay_alu instid0(VALU_DEP_2) | instskip(NEXT) | instid1(VALU_DEP_4)
	v_add_co_ci_u32_e32 v8, vcc_lo, s5, v8, vcc_lo
	v_cmp_le_u32_e32 vcc_lo, s8, v6
	global_load_b32 v2, v[7:8], off
	s_or_b32 s13, vcc_lo, s13
	s_waitcnt vmcnt(0)
	v_add_f32_e32 v4, v4, v2
	v_fmac_f32_e32 v5, v2, v2
	s_and_not1_b32 exec_lo, exec_lo, s13
	s_cbranch_execnz .LBB1_6
; %bb.7:
	s_or_b32 exec_lo, exec_lo, s13
.LBB1_8:
	s_delay_alu instid0(SALU_CYCLE_1) | instskip(NEXT) | instid1(SALU_CYCLE_1)
	s_or_b32 exec_lo, exec_lo, s10
	s_and_not1_b32 vcc_lo, exec_lo, s9
	s_cbranch_vccz .LBB1_10
	s_branch .LBB1_15
.LBB1_9:
                                        ; implicit-def: $vgpr4
                                        ; implicit-def: $vgpr5
.LBB1_10:
	s_delay_alu instid0(VALU_DEP_1) | instskip(SKIP_3) | instid1(VALU_DEP_2)
	v_dual_mov_b32 v4, 0 :: v_dual_lshlrev_b32 v3, 2, v1
	v_mov_b32_e32 v5, 0
	s_mov_b32 s10, 0
	s_mov_b32 s9, exec_lo
	v_cmpx_gt_u32_e64 s8, v3
	s_cbranch_execz .LBB1_14
; %bb.11:
	s_load_b32 s2, s[2:3], 0x10
	v_dual_mov_b32 v4, 0 :: v_dual_mov_b32 v5, 0
	v_mov_b32_e32 v2, 0
	s_waitcnt lgkmcnt(0)
	s_lshr_b32 s2, s2, 16
	s_delay_alu instid0(SALU_CYCLE_1) | instskip(SKIP_1) | instid1(SALU_CYCLE_1)
	s_cmp_lg_u32 s2, 0
	s_cselect_b32 s2, -1, 0
	s_cmp_lg_u32 s2, 0
	s_mul_i32 s2, s15, s8
	s_addc_u32 s3, s12, 0
	s_delay_alu instid0(SALU_CYCLE_1)
	s_lshl_b32 s3, s3, 12
	.p2align	6
.LBB1_12:                               ; =>This Inner Loop Header: Depth=1
	v_add_nc_u32_e32 v1, s2, v3
	v_add_nc_u32_e32 v3, s3, v3
	s_delay_alu instid0(VALU_DEP_2) | instskip(NEXT) | instid1(VALU_DEP_1)
	v_lshlrev_b64 v[6:7], 2, v[1:2]
	v_add_co_u32 v6, vcc_lo, s4, v6
	s_delay_alu instid0(VALU_DEP_2) | instskip(NEXT) | instid1(VALU_DEP_4)
	v_add_co_ci_u32_e32 v7, vcc_lo, s5, v7, vcc_lo
	v_cmp_le_u32_e32 vcc_lo, s8, v3
	global_load_b128 v[6:9], v[6:7], off
	s_or_b32 s10, vcc_lo, s10
	s_waitcnt vmcnt(0)
	v_add_f32_e32 v1, v4, v6
	s_delay_alu instid0(VALU_DEP_1) | instskip(NEXT) | instid1(VALU_DEP_1)
	v_add_f32_e32 v1, v1, v7
	v_add_f32_e32 v1, v1, v8
	s_delay_alu instid0(VALU_DEP_1) | instskip(NEXT) | instid1(VALU_DEP_1)
	v_dual_fmac_f32 v5, v6, v6 :: v_dual_add_f32 v4, v1, v9
	v_fmac_f32_e32 v5, v7, v7
	s_delay_alu instid0(VALU_DEP_1) | instskip(NEXT) | instid1(VALU_DEP_1)
	v_fmac_f32_e32 v5, v8, v8
	v_fmac_f32_e32 v5, v9, v9
	s_and_not1_b32 exec_lo, exec_lo, s10
	s_cbranch_execnz .LBB1_12
; %bb.13:
	s_or_b32 exec_lo, exec_lo, s10
.LBB1_14:
	s_delay_alu instid0(SALU_CYCLE_1)
	s_or_b32 exec_lo, exec_lo, s9
.LBB1_15:
	v_mbcnt_lo_u32_b32 v6, -1, 0
	s_mov_b32 s2, exec_lo
	s_delay_alu instid0(VALU_DEP_1) | instskip(SKIP_2) | instid1(VALU_DEP_2)
	v_cmp_gt_u32_e32 vcc_lo, 16, v6
	v_cndmask_b32_e64 v1, 0, 1, vcc_lo
	v_cmp_gt_u32_e32 vcc_lo, 24, v6
	v_lshlrev_b32_e32 v1, 4, v1
	v_cndmask_b32_e64 v2, 0, 1, vcc_lo
	v_cmp_gt_u32_e32 vcc_lo, 28, v6
	s_delay_alu instid0(VALU_DEP_3) | instskip(SKIP_4) | instid1(VALU_DEP_1)
	v_add_lshl_u32 v1, v1, v6, 2
	ds_bpermute_b32 v7, v1, v5
	ds_bpermute_b32 v3, v1, v4
	s_waitcnt lgkmcnt(1)
	v_dual_add_f32 v5, v5, v7 :: v_dual_lshlrev_b32 v2, 3, v2
	v_add_lshl_u32 v2, v2, v6, 2
	s_waitcnt lgkmcnt(0)
	v_add_f32_e32 v4, v4, v3
	v_cndmask_b32_e64 v3, 0, 1, vcc_lo
	v_cmp_gt_u32_e32 vcc_lo, 30, v6
	ds_bpermute_b32 v8, v2, v5
	ds_bpermute_b32 v7, v2, v4
	s_waitcnt lgkmcnt(1)
	v_add_f32_e32 v5, v5, v8
	v_lshlrev_b32_e32 v3, 2, v3
	s_waitcnt lgkmcnt(0)
	v_add_f32_e32 v7, v4, v7
	v_cndmask_b32_e64 v4, 0, 1, vcc_lo
	v_cmp_ne_u32_e32 vcc_lo, 31, v6
	v_add_lshl_u32 v3, v3, v6, 2
	s_delay_alu instid0(VALU_DEP_3)
	v_lshlrev_b32_e32 v4, 1, v4
	ds_bpermute_b32 v8, v3, v7
	ds_bpermute_b32 v9, v3, v5
	v_add_lshl_u32 v4, v4, v6, 2
	s_waitcnt lgkmcnt(0)
	v_dual_add_f32 v7, v7, v8 :: v_dual_add_f32 v8, v5, v9
	v_add_co_ci_u32_e32 v5, vcc_lo, 0, v6, vcc_lo
	v_and_b32_e32 v6, 31, v0
	ds_bpermute_b32 v9, v4, v7
	ds_bpermute_b32 v10, v4, v8
	v_lshlrev_b32_e32 v5, 2, v5
	s_waitcnt lgkmcnt(0)
	v_dual_add_f32 v7, v7, v9 :: v_dual_add_f32 v8, v8, v10
	ds_bpermute_b32 v9, v5, v7
	ds_bpermute_b32 v10, v5, v8
	v_cmpx_eq_u32_e32 0, v6
	s_cbranch_execz .LBB1_17
; %bb.16:
	v_lshrrev_b32_e32 v11, 2, v0
	s_waitcnt lgkmcnt(0)
	v_dual_add_f32 v8, v8, v10 :: v_dual_add_f32 v7, v7, v9
	ds_store_2addr_b32 v11, v7, v8 offset1:1
.LBB1_17:
	s_or_b32 exec_lo, exec_lo, s2
	v_cmp_gt_u32_e32 vcc_lo, 32, v0
	v_dual_mov_b32 v7, 0 :: v_dual_lshlrev_b32 v8, 3, v6
	v_mov_b32_e32 v6, 0
	s_waitcnt lgkmcnt(0)
	s_barrier
	buffer_gl0_inv
	s_and_saveexec_b32 s2, vcc_lo
	s_cbranch_execnz .LBB1_24
; %bb.18:
	s_or_b32 exec_lo, exec_lo, s2
	s_and_saveexec_b32 s2, vcc_lo
	s_cbranch_execnz .LBB1_25
.LBB1_19:
	s_or_b32 exec_lo, exec_lo, s2
	s_and_saveexec_b32 s2, vcc_lo
	s_cbranch_execz .LBB1_21
.LBB1_20:
	s_waitcnt lgkmcnt(0)
	ds_bpermute_b32 v8, v1, v7
	ds_bpermute_b32 v1, v1, v6
	s_waitcnt lgkmcnt(1)
	v_add_f32_e32 v7, v7, v8
	s_waitcnt lgkmcnt(0)
	v_add_f32_e32 v1, v6, v1
	ds_bpermute_b32 v6, v2, v7
	s_waitcnt lgkmcnt(0)
	v_add_f32_e32 v6, v7, v6
	ds_bpermute_b32 v2, v2, v1
	;; [unrolled: 3-line block ×3, first 2 shown]
	ds_bpermute_b32 v3, v3, v1
	s_waitcnt lgkmcnt(0)
	v_dual_add_f32 v2, v6, v2 :: v_dual_add_f32 v1, v1, v3
	ds_bpermute_b32 v3, v4, v2
	ds_bpermute_b32 v4, v4, v1
	s_waitcnt lgkmcnt(0)
	v_dual_add_f32 v2, v2, v3 :: v_dual_add_f32 v1, v1, v4
	ds_bpermute_b32 v3, v5, v2
	ds_bpermute_b32 v4, v5, v1
	s_waitcnt lgkmcnt(0)
	v_dual_add_f32 v7, v2, v3 :: v_dual_add_f32 v6, v1, v4
.LBB1_21:
	s_or_b32 exec_lo, exec_lo, s2
	s_mov_b32 s3, 0
	s_mov_b32 s2, exec_lo
	v_cmpx_eq_u32_e32 0, v0
	s_cbranch_execz .LBB1_23
; %bb.22:
	s_load_b64 s[0:1], s[0:1], 0x28
	s_mul_i32 s2, s12, s15
	v_mov_b32_e32 v0, 0
	s_add_i32 s2, s2, s14
	s_delay_alu instid0(SALU_CYCLE_1) | instskip(NEXT) | instid1(SALU_CYCLE_1)
	s_lshl_b64 s[2:3], s[2:3], 2
	s_add_u32 s4, s6, s2
	s_addc_u32 s5, s7, s3
	s_waitcnt lgkmcnt(0)
	s_add_u32 s0, s0, s2
	s_addc_u32 s1, s1, s3
	s_clause 0x1
	global_store_b32 v0, v7, s[4:5]
	global_store_b32 v0, v6, s[0:1]
.LBB1_23:
	s_nop 0
	s_sendmsg sendmsg(MSG_DEALLOC_VGPRS)
	s_endpgm
.LBB1_24:
	ds_load_b32 v7, v8
	s_or_b32 exec_lo, exec_lo, s2
	s_and_saveexec_b32 s2, vcc_lo
	s_cbranch_execz .LBB1_19
.LBB1_25:
	ds_load_b32 v6, v8 offset:4
	s_or_b32 exec_lo, exec_lo, s2
	s_and_saveexec_b32 s2, vcc_lo
	s_cbranch_execnz .LBB1_20
	s_branch .LBB1_21
.LBB1_26:
                                        ; implicit-def: $sgpr8_sgpr9
	s_branch .LBB1_2
	.section	.rodata,"a",@progbits
	.p2align	6, 0x0
	.amdhsa_kernel _ZN12_GLOBAL__N_128groupnorm_kernel_dispatch_upIfLj1024EEEvjjlbPKT_PfS4_
		.amdhsa_group_segment_fixed_size 256
		.amdhsa_private_segment_fixed_size 0
		.amdhsa_kernarg_size 304
		.amdhsa_user_sgpr_count 14
		.amdhsa_user_sgpr_dispatch_ptr 0
		.amdhsa_user_sgpr_queue_ptr 0
		.amdhsa_user_sgpr_kernarg_segment_ptr 1
		.amdhsa_user_sgpr_dispatch_id 0
		.amdhsa_user_sgpr_private_segment_size 0
		.amdhsa_wavefront_size32 1
		.amdhsa_uses_dynamic_stack 0
		.amdhsa_enable_private_segment 0
		.amdhsa_system_sgpr_workgroup_id_x 1
		.amdhsa_system_sgpr_workgroup_id_y 1
		.amdhsa_system_sgpr_workgroup_id_z 0
		.amdhsa_system_sgpr_workgroup_info 0
		.amdhsa_system_vgpr_workitem_id 0
		.amdhsa_next_free_vgpr 12
		.amdhsa_next_free_sgpr 23
		.amdhsa_reserve_vcc 1
		.amdhsa_float_round_mode_32 0
		.amdhsa_float_round_mode_16_64 0
		.amdhsa_float_denorm_mode_32 3
		.amdhsa_float_denorm_mode_16_64 3
		.amdhsa_dx10_clamp 1
		.amdhsa_ieee_mode 1
		.amdhsa_fp16_overflow 0
		.amdhsa_workgroup_processor_mode 1
		.amdhsa_memory_ordered 1
		.amdhsa_forward_progress 0
		.amdhsa_shared_vgpr_count 0
		.amdhsa_exception_fp_ieee_invalid_op 0
		.amdhsa_exception_fp_denorm_src 0
		.amdhsa_exception_fp_ieee_div_zero 0
		.amdhsa_exception_fp_ieee_overflow 0
		.amdhsa_exception_fp_ieee_underflow 0
		.amdhsa_exception_fp_ieee_inexact 0
		.amdhsa_exception_int_div_zero 0
	.end_amdhsa_kernel
	.section	.text._ZN12_GLOBAL__N_128groupnorm_kernel_dispatch_upIfLj1024EEEvjjlbPKT_PfS4_,"axG",@progbits,_ZN12_GLOBAL__N_128groupnorm_kernel_dispatch_upIfLj1024EEEvjjlbPKT_PfS4_,comdat
.Lfunc_end1:
	.size	_ZN12_GLOBAL__N_128groupnorm_kernel_dispatch_upIfLj1024EEEvjjlbPKT_PfS4_, .Lfunc_end1-_ZN12_GLOBAL__N_128groupnorm_kernel_dispatch_upIfLj1024EEEvjjlbPKT_PfS4_
                                        ; -- End function
	.section	.AMDGPU.csdata,"",@progbits
; Kernel info:
; codeLenInByte = 1896
; NumSgprs: 25
; NumVgprs: 12
; ScratchSize: 0
; MemoryBound: 0
; FloatMode: 240
; IeeeMode: 1
; LDSByteSize: 256 bytes/workgroup (compile time only)
; SGPRBlocks: 3
; VGPRBlocks: 1
; NumSGPRsForWavesPerEU: 25
; NumVGPRsForWavesPerEU: 12
; Occupancy: 16
; WaveLimiterHint : 0
; COMPUTE_PGM_RSRC2:SCRATCH_EN: 0
; COMPUTE_PGM_RSRC2:USER_SGPR: 14
; COMPUTE_PGM_RSRC2:TRAP_HANDLER: 0
; COMPUTE_PGM_RSRC2:TGID_X_EN: 1
; COMPUTE_PGM_RSRC2:TGID_Y_EN: 1
; COMPUTE_PGM_RSRC2:TGID_Z_EN: 0
; COMPUTE_PGM_RSRC2:TIDIG_COMP_CNT: 0
	.section	.text._ZN12_GLOBAL__N_130groupnorm_kernel_dispatch_downIfLj1024EEEvjjlfbPKT_S3_S3_PKfS5_PS1_,"axG",@progbits,_ZN12_GLOBAL__N_130groupnorm_kernel_dispatch_downIfLj1024EEEvjjlfbPKT_S3_S3_PKfS5_PS1_,comdat
	.globl	_ZN12_GLOBAL__N_130groupnorm_kernel_dispatch_downIfLj1024EEEvjjlfbPKT_S3_S3_PKfS5_PS1_ ; -- Begin function _ZN12_GLOBAL__N_130groupnorm_kernel_dispatch_downIfLj1024EEEvjjlfbPKT_S3_S3_PKfS5_PS1_
	.p2align	8
	.type	_ZN12_GLOBAL__N_130groupnorm_kernel_dispatch_downIfLj1024EEEvjjlfbPKT_S3_S3_PKfS5_PS1_,@function
_ZN12_GLOBAL__N_130groupnorm_kernel_dispatch_downIfLj1024EEEvjjlfbPKT_S3_S3_PKfS5_PS1_: ; @_ZN12_GLOBAL__N_130groupnorm_kernel_dispatch_downIfLj1024EEEvjjlfbPKT_S3_S3_PKfS5_PS1_
; %bb.0:
	s_clause 0x1
	s_load_b32 s24, s[0:1], 0x48
	s_load_b128 s[16:19], s[0:1], 0x0
	s_add_u32 s2, s0, 0x48
	s_addc_u32 s3, s1, 0
	v_mov_b32_e32 v1, 0
	s_waitcnt lgkmcnt(0)
	s_cmp_lt_u32 s14, s24
	s_cselect_b32 s4, 12, 18
	s_delay_alu instid0(SALU_CYCLE_1)
	s_add_u32 s2, s2, s4
	s_addc_u32 s3, s3, 0
	s_mul_hi_u32 s4, s17, s18
	global_load_u16 v3, v1, s[2:3]
	s_mul_i32 s3, s17, s19
	s_mov_b32 s2, 0
	s_add_i32 s3, s4, s3
	s_mul_i32 s4, s17, s18
	s_cmp_lg_u64 s[2:3], 0
	s_cbranch_scc0 .LBB2_52
; %bb.1:
	v_cvt_f32_ubyte0_e32 v1, 0
	v_cvt_f32_u32_e32 v2, s16
	s_sub_u32 s7, 0, s16
	s_subb_u32 s8, 0, 0
	s_delay_alu instid0(VALU_DEP_1) | instskip(NEXT) | instid1(VALU_DEP_1)
	v_fmamk_f32 v1, v1, 0x4f800000, v2
	v_rcp_f32_e32 v1, v1
	s_waitcnt_depctr 0xfff
	v_mul_f32_e32 v1, 0x5f7ffffc, v1
	s_delay_alu instid0(VALU_DEP_1) | instskip(NEXT) | instid1(VALU_DEP_1)
	v_mul_f32_e32 v2, 0x2f800000, v1
	v_trunc_f32_e32 v2, v2
	s_delay_alu instid0(VALU_DEP_1) | instskip(SKIP_1) | instid1(VALU_DEP_2)
	v_fmamk_f32 v1, v2, 0xcf800000, v1
	v_cvt_u32_f32_e32 v2, v2
	v_cvt_u32_f32_e32 v1, v1
	s_delay_alu instid0(VALU_DEP_2) | instskip(NEXT) | instid1(VALU_DEP_2)
	v_readfirstlane_b32 s5, v2
	v_readfirstlane_b32 s6, v1
	s_delay_alu instid0(VALU_DEP_2) | instskip(NEXT) | instid1(VALU_DEP_1)
	s_mul_i32 s9, s7, s5
	s_mul_hi_u32 s11, s7, s6
	s_mul_i32 s10, s8, s6
	s_add_i32 s9, s11, s9
	s_mul_i32 s12, s7, s6
	s_add_i32 s9, s9, s10
	s_mul_hi_u32 s11, s6, s12
	s_mul_hi_u32 s13, s5, s12
	s_mul_i32 s10, s5, s12
	s_mul_hi_u32 s12, s6, s9
	s_mul_i32 s6, s6, s9
	s_mul_hi_u32 s20, s5, s9
	s_add_u32 s6, s11, s6
	s_addc_u32 s11, 0, s12
	s_add_u32 s6, s6, s10
	s_mul_i32 s9, s5, s9
	s_addc_u32 s6, s11, s13
	s_addc_u32 s10, s20, 0
	s_add_u32 s6, s6, s9
	s_addc_u32 s9, 0, s10
	v_add_co_u32 v1, s6, v1, s6
	s_delay_alu instid0(VALU_DEP_1) | instskip(SKIP_1) | instid1(VALU_DEP_1)
	s_cmp_lg_u32 s6, 0
	s_addc_u32 s5, s5, s9
	v_readfirstlane_b32 s6, v1
	s_mul_i32 s9, s7, s5
	s_delay_alu instid0(VALU_DEP_1)
	s_mul_hi_u32 s10, s7, s6
	s_mul_i32 s8, s8, s6
	s_add_i32 s9, s10, s9
	s_mul_i32 s7, s7, s6
	s_add_i32 s9, s9, s8
	s_mul_hi_u32 s10, s5, s7
	s_mul_i32 s11, s5, s7
	s_mul_hi_u32 s7, s6, s7
	s_mul_hi_u32 s12, s6, s9
	s_mul_i32 s6, s6, s9
	s_mul_hi_u32 s8, s5, s9
	s_add_u32 s6, s7, s6
	s_addc_u32 s7, 0, s12
	s_add_u32 s6, s6, s11
	s_mul_i32 s9, s5, s9
	s_addc_u32 s6, s7, s10
	s_addc_u32 s7, s8, 0
	s_add_u32 s6, s6, s9
	s_addc_u32 s7, 0, s7
	v_add_co_u32 v1, s6, v1, s6
	s_delay_alu instid0(VALU_DEP_1) | instskip(SKIP_2) | instid1(SALU_CYCLE_1)
	s_cmp_lg_u32 s6, 0
	s_addc_u32 s5, s5, s7
	s_ashr_i32 s6, s3, 31
	s_add_u32 s8, s4, s6
	s_addc_u32 s9, s3, s6
	v_readfirstlane_b32 s3, v1
	s_mov_b32 s7, s6
	s_delay_alu instid0(SALU_CYCLE_1) | instskip(NEXT) | instid1(SALU_CYCLE_1)
	s_xor_b64 s[8:9], s[8:9], s[6:7]
	s_mul_i32 s11, s8, s5
	s_delay_alu instid0(VALU_DEP_1)
	s_mul_hi_u32 s12, s8, s3
	s_mul_hi_u32 s10, s8, s5
	;; [unrolled: 1-line block ×3, first 2 shown]
	s_mul_i32 s3, s9, s3
	s_add_u32 s11, s12, s11
	s_addc_u32 s10, 0, s10
	s_mul_hi_u32 s13, s9, s5
	s_add_u32 s3, s11, s3
	s_mul_i32 s5, s9, s5
	s_addc_u32 s3, s10, s20
	s_addc_u32 s10, s13, 0
	s_add_u32 s3, s3, s5
	s_addc_u32 s5, 0, s10
	s_mul_i32 s11, s16, s3
	s_add_u32 s10, s3, 1
	v_sub_co_u32 v1, s8, s8, s11
	s_mul_hi_u32 s11, s16, s3
	s_addc_u32 s12, s5, 0
	s_mul_i32 s13, s16, s5
	s_delay_alu instid0(VALU_DEP_1)
	v_sub_co_u32 v2, s20, v1, s16
	s_add_u32 s21, s3, 2
	s_addc_u32 s22, s5, 0
	s_add_i32 s11, s11, s13
	s_cmp_lg_u32 s8, 0
	v_readfirstlane_b32 s8, v2
	s_subb_u32 s9, s9, s11
	s_cmp_lg_u32 s20, 0
	s_subb_u32 s11, s9, 0
	s_delay_alu instid0(VALU_DEP_1) | instskip(SKIP_4) | instid1(SALU_CYCLE_1)
	s_cmp_ge_u32 s8, s16
	s_cselect_b32 s8, -1, 0
	s_cmp_eq_u32 s11, 0
	v_readfirstlane_b32 s11, v1
	s_cselect_b32 s8, s8, -1
	s_cmp_lg_u32 s8, 0
	s_cselect_b32 s8, s21, s10
	s_cselect_b32 s10, s22, s12
	s_cmp_ge_u32 s11, s16
	s_cselect_b32 s11, -1, 0
	s_cmp_eq_u32 s9, 0
	s_cselect_b32 s9, s11, -1
	s_delay_alu instid0(SALU_CYCLE_1) | instskip(SKIP_2) | instid1(SALU_CYCLE_1)
	s_cmp_lg_u32 s9, 0
	s_cselect_b32 s9, s10, s5
	s_cselect_b32 s8, s8, s3
	s_xor_b64 s[8:9], s[8:9], s[6:7]
	s_delay_alu instid0(SALU_CYCLE_1)
	s_sub_u32 s12, s8, s6
	s_and_not1_b32 vcc_lo, exec_lo, s2
	s_cbranch_vccnz .LBB2_3
.LBB2_2:
	v_cvt_f32_u32_e32 v1, s16
	s_sub_i32 s3, 0, s16
	s_delay_alu instid0(VALU_DEP_1) | instskip(SKIP_2) | instid1(VALU_DEP_1)
	v_rcp_iflag_f32_e32 v1, v1
	s_waitcnt_depctr 0xfff
	v_mul_f32_e32 v1, 0x4f7ffffe, v1
	v_cvt_u32_f32_e32 v1, v1
	s_delay_alu instid0(VALU_DEP_1) | instskip(NEXT) | instid1(VALU_DEP_1)
	v_readfirstlane_b32 s2, v1
	s_mul_i32 s3, s3, s2
	s_delay_alu instid0(SALU_CYCLE_1) | instskip(NEXT) | instid1(SALU_CYCLE_1)
	s_mul_hi_u32 s3, s2, s3
	s_add_i32 s2, s2, s3
	s_delay_alu instid0(SALU_CYCLE_1) | instskip(NEXT) | instid1(SALU_CYCLE_1)
	s_mul_hi_u32 s2, s4, s2
	s_mul_i32 s3, s2, s16
	s_delay_alu instid0(SALU_CYCLE_1)
	s_sub_i32 s3, s4, s3
	s_add_i32 s4, s2, 1
	s_sub_i32 s5, s3, s16
	s_cmp_ge_u32 s3, s16
	s_cselect_b32 s2, s4, s2
	s_cselect_b32 s3, s5, s3
	s_add_i32 s4, s2, 1
	s_cmp_ge_u32 s3, s16
	s_cselect_b32 s12, s4, s2
.LBB2_3:
	s_clause 0x1
	s_load_b256 s[4:11], s[0:1], 0x18
	s_load_b128 s[20:23], s[0:1], 0x38
	v_dual_mov_b32 v6, 0 :: v_dual_mov_b32 v7, 0
	s_mov_b32 s2, exec_lo
	v_cmpx_gt_u32_e64 s24, v0
	s_cbranch_execz .LBB2_7
; %bb.4:
	v_dual_mov_b32 v6, 0 :: v_dual_mov_b32 v7, 0
	v_mov_b32_e32 v2, 0
	v_mov_b32_e32 v4, v0
	s_mul_i32 s13, s24, s15
	s_mov_b32 s3, 0
	.p2align	6
.LBB2_5:                                ; =>This Inner Loop Header: Depth=1
	s_delay_alu instid0(VALU_DEP_1) | instskip(NEXT) | instid1(VALU_DEP_1)
	v_add_nc_u32_e32 v1, s13, v4
	v_lshlrev_b64 v[8:9], 2, v[1:2]
	s_waitcnt lgkmcnt(0)
	s_delay_alu instid0(VALU_DEP_1) | instskip(NEXT) | instid1(VALU_DEP_2)
	v_add_co_u32 v10, vcc_lo, s10, v8
	v_add_co_ci_u32_e32 v11, vcc_lo, s11, v9, vcc_lo
	v_add_co_u32 v8, vcc_lo, s20, v8
	v_add_co_ci_u32_e32 v9, vcc_lo, s21, v9, vcc_lo
	global_load_b32 v1, v[10:11], off
	global_load_b32 v5, v[8:9], off
	v_add_nc_u32_e32 v4, 0x400, v4
	s_waitcnt vmcnt(1)
	v_add_f32_e32 v6, v6, v1
	s_waitcnt vmcnt(0)
	v_add_f32_e32 v7, v7, v5
	v_cmp_le_u32_e32 vcc_lo, s24, v4
	s_or_b32 s3, vcc_lo, s3
	s_delay_alu instid0(SALU_CYCLE_1)
	s_and_not1_b32 exec_lo, exec_lo, s3
	s_cbranch_execnz .LBB2_5
; %bb.6:
	s_or_b32 exec_lo, exec_lo, s3
.LBB2_7:
	s_delay_alu instid0(SALU_CYCLE_1) | instskip(SKIP_3) | instid1(VALU_DEP_1)
	s_or_b32 exec_lo, exec_lo, s2
	v_mbcnt_lo_u32_b32 v1, -1, 0
	s_mov_b32 s13, s17
	s_mov_b32 s2, exec_lo
	v_cmp_gt_u32_e32 vcc_lo, 16, v1
	v_cndmask_b32_e64 v2, 0, 1, vcc_lo
	v_cmp_gt_u32_e32 vcc_lo, 24, v1
	s_delay_alu instid0(VALU_DEP_2) | instskip(SKIP_2) | instid1(VALU_DEP_3)
	v_lshlrev_b32_e32 v2, 4, v2
	v_cndmask_b32_e64 v5, 0, 1, vcc_lo
	v_cmp_gt_u32_e32 vcc_lo, 28, v1
	v_add_lshl_u32 v4, v2, v1, 2
	ds_bpermute_b32 v2, v4, v6
	ds_bpermute_b32 v8, v4, v7
	s_waitcnt lgkmcnt(0)
	v_dual_add_f32 v2, v6, v2 :: v_dual_lshlrev_b32 v5, 3, v5
	s_delay_alu instid0(VALU_DEP_1)
	v_add_lshl_u32 v5, v5, v1, 2
	v_add_f32_e32 v7, v7, v8
	v_cndmask_b32_e64 v6, 0, 1, vcc_lo
	v_cmp_gt_u32_e32 vcc_lo, 30, v1
	ds_bpermute_b32 v8, v5, v2
	ds_bpermute_b32 v9, v5, v7
	v_lshlrev_b32_e32 v6, 2, v6
	s_delay_alu instid0(VALU_DEP_1)
	v_add_lshl_u32 v6, v6, v1, 2
	s_waitcnt lgkmcnt(1)
	v_add_f32_e32 v2, v2, v8
	s_waitcnt lgkmcnt(0)
	v_add_f32_e32 v8, v7, v9
	v_cndmask_b32_e64 v7, 0, 1, vcc_lo
	v_cmp_ne_u32_e32 vcc_lo, 31, v1
	ds_bpermute_b32 v10, v6, v8
	v_lshlrev_b32_e32 v7, 1, v7
	ds_bpermute_b32 v9, v6, v2
	v_add_lshl_u32 v7, v7, v1, 2
	v_add_co_ci_u32_e32 v1, vcc_lo, 0, v1, vcc_lo
	s_waitcnt lgkmcnt(0)
	v_dual_add_f32 v2, v2, v9 :: v_dual_add_f32 v9, v8, v10
	s_delay_alu instid0(VALU_DEP_2)
	v_lshlrev_b32_e32 v8, 2, v1
	v_and_b32_e32 v1, 31, v0
	ds_bpermute_b32 v10, v7, v2
	ds_bpermute_b32 v11, v7, v9
	s_waitcnt lgkmcnt(0)
	v_dual_add_f32 v2, v2, v10 :: v_dual_add_f32 v9, v9, v11
	ds_bpermute_b32 v10, v8, v2
	ds_bpermute_b32 v11, v8, v9
	v_cmpx_eq_u32_e32 0, v1
	s_cbranch_execz .LBB2_9
; %bb.8:
	v_lshrrev_b32_e32 v12, 2, v0
	s_waitcnt lgkmcnt(0)
	v_dual_add_f32 v9, v9, v11 :: v_dual_add_f32 v2, v2, v10
	ds_store_2addr_b32 v12, v2, v9 offset1:1
.LBB2_9:
	s_or_b32 exec_lo, exec_lo, s2
	v_cmp_gt_u32_e32 vcc_lo, 32, v0
	v_dual_mov_b32 v2, 0 :: v_dual_lshlrev_b32 v9, 3, v1
	v_mov_b32_e32 v1, 0
	s_waitcnt vmcnt(0) lgkmcnt(0)
	s_barrier
	buffer_gl0_inv
	s_and_saveexec_b32 s2, vcc_lo
	s_cbranch_execnz .LBB2_32
; %bb.10:
	s_or_b32 exec_lo, exec_lo, s2
	s_and_saveexec_b32 s2, vcc_lo
	s_cbranch_execnz .LBB2_33
.LBB2_11:
	s_or_b32 exec_lo, exec_lo, s2
	s_and_saveexec_b32 s2, vcc_lo
	s_cbranch_execz .LBB2_13
.LBB2_12:
	s_waitcnt lgkmcnt(0)
	ds_bpermute_b32 v9, v4, v1
	ds_bpermute_b32 v4, v4, v2
	s_waitcnt lgkmcnt(0)
	v_dual_add_f32 v1, v1, v9 :: v_dual_add_f32 v2, v2, v4
	ds_bpermute_b32 v4, v5, v1
	ds_bpermute_b32 v5, v5, v2
	s_waitcnt lgkmcnt(0)
	v_dual_add_f32 v1, v1, v4 :: v_dual_add_f32 v2, v2, v5
	;; [unrolled: 4-line block ×5, first 2 shown]
.LBB2_13:
	s_or_b32 exec_lo, exec_lo, s2
	s_delay_alu instid0(SALU_CYCLE_1)
	s_mov_b32 s2, exec_lo
	v_cmpx_eq_u32_e32 0, v0
	s_cbranch_execz .LBB2_15
; %bb.14:
	v_mov_b32_e32 v4, 0
	s_waitcnt lgkmcnt(0)
	ds_store_b64 v4, v[1:2]
.LBB2_15:
	s_or_b32 exec_lo, exec_lo, s2
	s_waitcnt lgkmcnt(0)
	v_mov_b32_e32 v1, 0
	s_barrier
	buffer_gl0_inv
	v_cvt_f32_u32_e32 v4, s12
	ds_load_b64 v[1:2], v1
	s_load_b64 s[0:1], s[0:1], 0x10
	v_and_b32_e32 v3, 0xffff, v3
	s_waitcnt lgkmcnt(0)
	v_div_scale_f32 v5, null, v4, v4, v1
	v_div_scale_f32 v6, null, v4, v4, v2
	v_div_scale_f32 v11, vcc_lo, v1, v4, v1
	s_delay_alu instid0(VALU_DEP_3) | instskip(NEXT) | instid1(VALU_DEP_2)
	v_rcp_f32_e32 v7, v5
	v_rcp_f32_e32 v8, v6
	s_bitcmp1_b32 s1, 0
	s_waitcnt_depctr 0xfff
	v_fma_f32 v9, -v5, v7, 1.0
	v_fma_f32 v10, -v6, v8, 1.0
	s_delay_alu instid0(VALU_DEP_1) | instskip(SKIP_1) | instid1(VALU_DEP_1)
	v_dual_fmac_f32 v8, v10, v8 :: v_dual_fmac_f32 v7, v9, v7
	v_div_scale_f32 v9, s2, v2, v4, v2
	v_mul_f32_e32 v12, v9, v8
	s_delay_alu instid0(VALU_DEP_1) | instskip(NEXT) | instid1(VALU_DEP_1)
	v_fma_f32 v14, -v6, v12, v9
	v_fmac_f32_e32 v12, v14, v8
	v_mul_f32_e32 v10, v11, v7
	s_delay_alu instid0(VALU_DEP_2) | instskip(NEXT) | instid1(VALU_DEP_2)
	v_fma_f32 v6, -v6, v12, v9
	v_fma_f32 v13, -v5, v10, v11
	s_delay_alu instid0(VALU_DEP_1) | instskip(NEXT) | instid1(VALU_DEP_1)
	v_fmac_f32_e32 v10, v13, v7
	v_fma_f32 v5, -v5, v10, v11
	s_delay_alu instid0(VALU_DEP_1) | instskip(SKIP_2) | instid1(VALU_DEP_2)
	v_div_fmas_f32 v5, v5, v7, v10
	s_mov_b32 vcc_lo, s2
	v_div_fmas_f32 v6, v6, v8, v12
	v_div_fixup_f32 v9, v5, v4, v1
	s_delay_alu instid0(VALU_DEP_2) | instskip(NEXT) | instid1(VALU_DEP_1)
	v_div_fixup_f32 v1, v6, v4, v2
	v_fma_f32 v1, -v9, v9, v1
	s_delay_alu instid0(VALU_DEP_1) | instskip(SKIP_1) | instid1(VALU_DEP_1)
	v_add_f32_e32 v1, s0, v1
	s_cselect_b32 s0, -1, 0
	v_cvt_f64_f32_e32 v[1:2], v1
	s_delay_alu instid0(VALU_DEP_1) | instskip(SKIP_3) | instid1(VALU_DEP_2)
	v_rsq_f64_e32 v[4:5], v[1:2]
	s_waitcnt_depctr 0xfff
	v_mul_f64 v[1:2], v[4:5], -v[1:2]
	v_cmp_class_f64_e64 vcc_lo, v[4:5], 0x180
	v_fma_f64 v[1:2], v[1:2], v[4:5], 1.0
	s_delay_alu instid0(VALU_DEP_1) | instskip(SKIP_1) | instid1(VALU_DEP_1)
	v_mul_f64 v[6:7], v[4:5], v[1:2]
	v_fma_f64 v[1:2], 0x3fd80000, v[1:2], 0.5
	v_fma_f64 v[1:2], v[6:7], v[1:2], v[4:5]
	s_delay_alu instid0(VALU_DEP_1) | instskip(SKIP_2) | instid1(VALU_DEP_1)
	v_dual_cndmask_b32 v2, v5, v2 :: v_dual_cndmask_b32 v1, v4, v1
	s_and_b32 vcc_lo, exec_lo, s0
	s_mov_b32 s0, -1
	v_cvt_f32_f64_e32 v10, v[1:2]
	v_mad_u64_u32 v[1:2], null, s14, v3, v[0:1]
	s_cbranch_vccnz .LBB2_35
; %bb.16:
	s_mov_b32 s1, exec_lo
	s_delay_alu instid0(VALU_DEP_1)
	v_cmpx_gt_u32_e64 s12, v1
	s_cbranch_execz .LBB2_34
; %bb.17:
	v_cvt_f32_ubyte0_e32 v2, 0
	v_cvt_f32_u32_e32 v3, s13
	v_cvt_f32_u32_e32 v0, s18
	s_cmp_lg_u64 s[6:7], 0
	s_mov_b32 s2, 0
	s_delay_alu instid0(VALU_DEP_2) | instskip(NEXT) | instid1(VALU_DEP_2)
	v_dual_mov_b32 v12, v1 :: v_dual_fmac_f32 v3, 0x4f800000, v2
	v_rcp_iflag_f32_e32 v0, v0
	s_cselect_b32 s14, -1, 0
	s_cmp_lg_u64 s[8:9], 0
	s_mul_i32 s21, s15, s12
	v_rcp_f32_e32 v2, v3
	s_cselect_b32 s20, -1, 0
	s_sub_i32 s0, 0, s18
	s_mov_b32 s3, s19
	s_lshl_b32 s25, s24, 10
	s_ashr_i32 s10, s19, 31
	s_waitcnt_depctr 0xfff
	v_mul_f32_e32 v0, 0x4f7ffffe, v0
	s_sub_i32 s26, 0, s13
	s_mov_b32 s27, s2
	v_mul_f32_e32 v2, 0x5f7ffffc, v2
	s_delay_alu instid0(VALU_DEP_1) | instskip(NEXT) | instid1(VALU_DEP_1)
	v_mul_f32_e32 v3, 0x2f800000, v2
	v_trunc_f32_e32 v5, v3
	v_mov_b32_e32 v3, 0
	v_cvt_u32_f32_e32 v4, v0
	s_delay_alu instid0(VALU_DEP_1) | instskip(NEXT) | instid1(VALU_DEP_1)
	v_mul_lo_u32 v0, s0, v4
	v_mul_hi_u32 v6, v4, v0
	v_fmac_f32_e32 v2, 0xcf800000, v5
	v_cvt_u32_f32_e32 v0, v5
	s_delay_alu instid0(VALU_DEP_3) | instskip(NEXT) | instid1(VALU_DEP_3)
	v_add_nc_u32_e32 v11, v4, v6
	v_cvt_u32_f32_e32 v8, v2
	s_branch .LBB2_20
.LBB2_18:                               ;   in Loop: Header=BB2_20 Depth=1
	v_mov_b32_e32 v7, v3
	s_delay_alu instid0(VALU_DEP_1) | instskip(NEXT) | instid1(VALU_DEP_1)
	v_lshlrev_b64 v[5:6], 2, v[6:7]
	v_add_co_u32 v5, vcc_lo, s8, v5
	s_delay_alu instid0(VALU_DEP_2)
	v_add_co_ci_u32_e32 v6, vcc_lo, s9, v6, vcc_lo
	global_load_b32 v5, v[5:6], off
.LBB2_19:                               ;   in Loop: Header=BB2_20 Depth=1
	v_lshlrev_b64 v[6:7], 2, v[2:3]
	s_delay_alu instid0(VALU_DEP_1) | instskip(NEXT) | instid1(VALU_DEP_2)
	v_add_co_u32 v13, vcc_lo, s4, v6
	v_add_co_ci_u32_e32 v14, vcc_lo, s5, v7, vcc_lo
	v_add_co_u32 v6, s0, s22, v6
	s_delay_alu instid0(VALU_DEP_1) | instskip(SKIP_3) | instid1(VALU_DEP_1)
	v_add_co_ci_u32_e64 v7, s0, s23, v7, s0
	global_load_b32 v2, v[13:14], off
	s_waitcnt vmcnt(0)
	v_sub_f32_e32 v2, v2, v9
	v_mul_f32_e32 v2, v2, v10
	s_delay_alu instid0(VALU_DEP_1) | instskip(NEXT) | instid1(VALU_DEP_1)
	v_dual_fmac_f32 v5, v4, v2 :: v_dual_add_nc_u32 v12, s25, v12
	v_cmp_le_u32_e32 vcc_lo, s12, v12
	global_store_b32 v[6:7], v5, off
	s_or_b32 s27, vcc_lo, s27
	s_delay_alu instid0(SALU_CYCLE_1)
	s_and_not1_b32 exec_lo, exec_lo, s27
	s_cbranch_execz .LBB2_34
.LBB2_20:                               ; =>This Inner Loop Header: Depth=1
	v_add_nc_u32_e32 v2, s21, v12
	s_cmp_lg_u64 s[2:3], 0
	s_cbranch_scc0 .LBB2_31
; %bb.21:                               ;   in Loop: Header=BB2_20 Depth=1
	s_add_u32 s16, s18, s10
	s_mov_b32 s11, s10
	s_addc_u32 s17, s19, s10
	s_delay_alu instid0(SALU_CYCLE_1) | instskip(NEXT) | instid1(SALU_CYCLE_1)
	s_xor_b64 s[16:17], s[16:17], s[10:11]
	v_cvt_f32_u32_e32 v4, s16
	v_cvt_f32_u32_e32 v5, s17
	s_sub_u32 s0, 0, s16
	s_subb_u32 s11, 0, s17
	s_delay_alu instid0(VALU_DEP_1) | instskip(NEXT) | instid1(VALU_DEP_1)
	v_fmac_f32_e32 v4, 0x4f800000, v5
	v_rcp_f32_e32 v4, v4
	s_waitcnt_depctr 0xfff
	v_mul_f32_e32 v4, 0x5f7ffffc, v4
	s_delay_alu instid0(VALU_DEP_1) | instskip(NEXT) | instid1(VALU_DEP_1)
	v_mul_f32_e32 v5, 0x2f800000, v4
	v_trunc_f32_e32 v5, v5
	s_delay_alu instid0(VALU_DEP_1) | instskip(SKIP_1) | instid1(VALU_DEP_2)
	v_fmac_f32_e32 v4, 0xcf800000, v5
	v_cvt_u32_f32_e32 v5, v5
	v_cvt_u32_f32_e32 v4, v4
	s_delay_alu instid0(VALU_DEP_2) | instskip(NEXT) | instid1(VALU_DEP_2)
	v_mul_lo_u32 v6, s0, v5
	v_mul_hi_u32 v7, s0, v4
	v_mul_lo_u32 v13, s11, v4
	s_delay_alu instid0(VALU_DEP_2) | instskip(SKIP_1) | instid1(VALU_DEP_2)
	v_add_nc_u32_e32 v6, v7, v6
	v_mul_lo_u32 v7, s0, v4
	v_add_nc_u32_e32 v6, v6, v13
	s_delay_alu instid0(VALU_DEP_2) | instskip(NEXT) | instid1(VALU_DEP_2)
	v_mul_hi_u32 v13, v4, v7
	v_mul_lo_u32 v14, v4, v6
	v_mul_hi_u32 v15, v4, v6
	v_mul_hi_u32 v16, v5, v7
	v_mul_lo_u32 v7, v5, v7
	v_mul_hi_u32 v17, v5, v6
	v_mul_lo_u32 v6, v5, v6
	v_add_co_u32 v13, vcc_lo, v13, v14
	v_add_co_ci_u32_e32 v14, vcc_lo, 0, v15, vcc_lo
	s_delay_alu instid0(VALU_DEP_2) | instskip(NEXT) | instid1(VALU_DEP_2)
	v_add_co_u32 v7, vcc_lo, v13, v7
	v_add_co_ci_u32_e32 v7, vcc_lo, v14, v16, vcc_lo
	v_add_co_ci_u32_e32 v13, vcc_lo, 0, v17, vcc_lo
	s_delay_alu instid0(VALU_DEP_2) | instskip(NEXT) | instid1(VALU_DEP_2)
	v_add_co_u32 v6, vcc_lo, v7, v6
	v_add_co_ci_u32_e32 v7, vcc_lo, 0, v13, vcc_lo
	s_delay_alu instid0(VALU_DEP_2) | instskip(NEXT) | instid1(VALU_DEP_2)
	v_add_co_u32 v4, vcc_lo, v4, v6
	v_add_co_ci_u32_e32 v5, vcc_lo, v5, v7, vcc_lo
	s_delay_alu instid0(VALU_DEP_2) | instskip(SKIP_1) | instid1(VALU_DEP_3)
	v_mul_hi_u32 v6, s0, v4
	v_mul_lo_u32 v13, s11, v4
	v_mul_lo_u32 v7, s0, v5
	s_delay_alu instid0(VALU_DEP_1) | instskip(SKIP_1) | instid1(VALU_DEP_2)
	v_add_nc_u32_e32 v6, v6, v7
	v_mul_lo_u32 v7, s0, v4
	v_add_nc_u32_e32 v6, v6, v13
	s_delay_alu instid0(VALU_DEP_2) | instskip(NEXT) | instid1(VALU_DEP_2)
	v_mul_hi_u32 v13, v4, v7
	v_mul_lo_u32 v14, v4, v6
	v_mul_hi_u32 v15, v4, v6
	v_mul_hi_u32 v16, v5, v7
	v_mul_lo_u32 v7, v5, v7
	v_mul_hi_u32 v17, v5, v6
	v_mul_lo_u32 v6, v5, v6
	v_add_co_u32 v13, vcc_lo, v13, v14
	v_add_co_ci_u32_e32 v14, vcc_lo, 0, v15, vcc_lo
	s_delay_alu instid0(VALU_DEP_2) | instskip(NEXT) | instid1(VALU_DEP_2)
	v_add_co_u32 v7, vcc_lo, v13, v7
	v_add_co_ci_u32_e32 v7, vcc_lo, v14, v16, vcc_lo
	v_add_co_ci_u32_e32 v13, vcc_lo, 0, v17, vcc_lo
	s_delay_alu instid0(VALU_DEP_2) | instskip(NEXT) | instid1(VALU_DEP_2)
	v_add_co_u32 v6, vcc_lo, v7, v6
	v_add_co_ci_u32_e32 v7, vcc_lo, 0, v13, vcc_lo
	s_delay_alu instid0(VALU_DEP_2) | instskip(NEXT) | instid1(VALU_DEP_2)
	v_add_co_u32 v13, vcc_lo, v4, v6
	v_add_co_ci_u32_e32 v15, vcc_lo, v5, v7, vcc_lo
	s_delay_alu instid0(VALU_DEP_2) | instskip(SKIP_1) | instid1(VALU_DEP_3)
	v_mul_hi_u32 v16, v2, v13
	v_mad_u64_u32 v[6:7], null, 0, v13, 0
	v_mad_u64_u32 v[4:5], null, v2, v15, 0
	;; [unrolled: 1-line block ×3, first 2 shown]
	s_delay_alu instid0(VALU_DEP_2) | instskip(NEXT) | instid1(VALU_DEP_3)
	v_add_co_u32 v4, vcc_lo, v16, v4
	v_add_co_ci_u32_e32 v5, vcc_lo, 0, v5, vcc_lo
	s_delay_alu instid0(VALU_DEP_2) | instskip(NEXT) | instid1(VALU_DEP_2)
	v_add_co_u32 v4, vcc_lo, v4, v6
	v_add_co_ci_u32_e32 v4, vcc_lo, v5, v7, vcc_lo
	v_add_co_ci_u32_e32 v5, vcc_lo, 0, v14, vcc_lo
	s_delay_alu instid0(VALU_DEP_2) | instskip(NEXT) | instid1(VALU_DEP_2)
	v_add_co_u32 v6, vcc_lo, v4, v13
	v_add_co_ci_u32_e32 v7, vcc_lo, 0, v5, vcc_lo
	s_delay_alu instid0(VALU_DEP_2) | instskip(SKIP_1) | instid1(VALU_DEP_3)
	v_mul_lo_u32 v13, s17, v6
	v_mad_u64_u32 v[4:5], null, s16, v6, 0
	v_mul_lo_u32 v14, s16, v7
	s_delay_alu instid0(VALU_DEP_2) | instskip(NEXT) | instid1(VALU_DEP_2)
	v_sub_co_u32 v4, vcc_lo, v2, v4
	v_add3_u32 v5, v5, v14, v13
	s_delay_alu instid0(VALU_DEP_1) | instskip(NEXT) | instid1(VALU_DEP_1)
	v_sub_nc_u32_e32 v13, 0, v5
	v_subrev_co_ci_u32_e64 v13, s0, s17, v13, vcc_lo
	v_add_co_u32 v14, s0, v6, 2
	s_delay_alu instid0(VALU_DEP_1) | instskip(SKIP_3) | instid1(VALU_DEP_3)
	v_add_co_ci_u32_e64 v15, s0, 0, v7, s0
	v_sub_co_u32 v16, s0, v4, s16
	v_sub_co_ci_u32_e32 v5, vcc_lo, 0, v5, vcc_lo
	v_subrev_co_ci_u32_e64 v13, s0, 0, v13, s0
	v_cmp_le_u32_e32 vcc_lo, s16, v16
	s_delay_alu instid0(VALU_DEP_3) | instskip(SKIP_1) | instid1(VALU_DEP_4)
	v_cmp_eq_u32_e64 s0, s17, v5
	v_cndmask_b32_e64 v16, 0, -1, vcc_lo
	v_cmp_le_u32_e32 vcc_lo, s17, v13
	v_cndmask_b32_e64 v17, 0, -1, vcc_lo
	v_cmp_le_u32_e32 vcc_lo, s16, v4
	v_cndmask_b32_e64 v4, 0, -1, vcc_lo
	v_cmp_le_u32_e32 vcc_lo, s17, v5
	v_cndmask_b32_e64 v18, 0, -1, vcc_lo
	v_cmp_eq_u32_e32 vcc_lo, s17, v13
	s_delay_alu instid0(VALU_DEP_2) | instskip(SKIP_3) | instid1(VALU_DEP_3)
	v_cndmask_b32_e64 v4, v18, v4, s0
	v_cndmask_b32_e32 v13, v17, v16, vcc_lo
	v_add_co_u32 v16, vcc_lo, v6, 1
	v_add_co_ci_u32_e32 v17, vcc_lo, 0, v7, vcc_lo
	v_cmp_ne_u32_e32 vcc_lo, 0, v13
	s_delay_alu instid0(VALU_DEP_3) | instskip(NEXT) | instid1(VALU_DEP_3)
	v_cndmask_b32_e32 v13, v16, v14, vcc_lo
	v_cndmask_b32_e32 v5, v17, v15, vcc_lo
	v_cmp_ne_u32_e32 vcc_lo, 0, v4
	s_delay_alu instid0(VALU_DEP_2) | instskip(NEXT) | instid1(VALU_DEP_4)
	v_cndmask_b32_e32 v4, v7, v5, vcc_lo
	v_cndmask_b32_e32 v5, v6, v13, vcc_lo
	s_delay_alu instid0(VALU_DEP_2) | instskip(NEXT) | instid1(VALU_DEP_2)
	v_xor_b32_e32 v6, s10, v4
	v_xor_b32_e32 v5, s10, v5
	s_delay_alu instid0(VALU_DEP_1) | instskip(NEXT) | instid1(VALU_DEP_3)
	v_sub_co_u32 v4, vcc_lo, v5, s10
	v_subrev_co_ci_u32_e32 v5, vcc_lo, s10, v6, vcc_lo
	s_cbranch_execnz .LBB2_23
.LBB2_22:                               ;   in Loop: Header=BB2_20 Depth=1
	s_delay_alu instid0(VALU_DEP_1) | instskip(NEXT) | instid1(VALU_DEP_1)
	v_mul_hi_u32 v4, v2, v11
	v_mul_lo_u32 v5, v4, s18
	s_delay_alu instid0(VALU_DEP_1) | instskip(NEXT) | instid1(VALU_DEP_1)
	v_sub_nc_u32_e32 v5, v2, v5
	v_subrev_nc_u32_e32 v7, s18, v5
	v_cmp_le_u32_e32 vcc_lo, s18, v5
	s_delay_alu instid0(VALU_DEP_2) | instskip(NEXT) | instid1(VALU_DEP_1)
	v_dual_cndmask_b32 v5, v5, v7 :: v_dual_add_nc_u32 v6, 1, v4
	v_cndmask_b32_e32 v4, v4, v6, vcc_lo
	s_delay_alu instid0(VALU_DEP_2) | instskip(NEXT) | instid1(VALU_DEP_2)
	v_cmp_le_u32_e32 vcc_lo, s18, v5
	v_dual_mov_b32 v5, v3 :: v_dual_add_nc_u32 v6, 1, v4
	s_delay_alu instid0(VALU_DEP_1)
	v_cndmask_b32_e32 v4, v4, v6, vcc_lo
.LBB2_23:                               ;   in Loop: Header=BB2_20 Depth=1
	s_delay_alu instid0(VALU_DEP_1) | instskip(NEXT) | instid1(VALU_DEP_1)
	v_dual_mov_b32 v6, v3 :: v_dual_mov_b32 v7, v5
	v_cmp_ne_u64_e32 vcc_lo, 0, v[6:7]
                                        ; implicit-def: $vgpr6_vgpr7
	s_and_saveexec_b32 s0, vcc_lo
	s_delay_alu instid0(SALU_CYCLE_1)
	s_xor_b32 s0, exec_lo, s0
	s_cbranch_execnz .LBB2_27
; %bb.24:                               ;   in Loop: Header=BB2_20 Depth=1
	s_and_not1_saveexec_b32 s0, s0
	s_cbranch_execnz .LBB2_28
.LBB2_25:                               ;   in Loop: Header=BB2_20 Depth=1
	s_or_b32 exec_lo, exec_lo, s0
	s_delay_alu instid0(SALU_CYCLE_1)
	s_and_not1_b32 vcc_lo, exec_lo, s14
	s_cbranch_vccnz .LBB2_29
.LBB2_26:                               ;   in Loop: Header=BB2_20 Depth=1
	v_mov_b32_e32 v7, v3
	s_delay_alu instid0(VALU_DEP_1) | instskip(NEXT) | instid1(VALU_DEP_1)
	v_lshlrev_b64 v[4:5], 2, v[6:7]
	v_add_co_u32 v4, vcc_lo, s6, v4
	s_delay_alu instid0(VALU_DEP_2)
	v_add_co_ci_u32_e32 v5, vcc_lo, s7, v5, vcc_lo
	global_load_b32 v4, v[4:5], off
	s_and_not1_b32 vcc_lo, exec_lo, s20
	s_cbranch_vccz .LBB2_18
	s_branch .LBB2_30
.LBB2_27:                               ;   in Loop: Header=BB2_20 Depth=1
	s_sub_u32 s11, 0, s13
	s_subb_u32 s16, 0, 0
	v_mul_hi_u32 v6, s11, v8
	v_mul_lo_u32 v7, s11, v0
	v_mul_lo_u32 v13, s16, v8
	v_ashrrev_i32_e32 v18, 31, v5
	s_delay_alu instid0(VALU_DEP_3) | instskip(SKIP_1) | instid1(VALU_DEP_2)
	v_add_nc_u32_e32 v6, v6, v7
	v_mul_lo_u32 v7, s11, v8
	v_add_nc_u32_e32 v6, v6, v13
	s_delay_alu instid0(VALU_DEP_2) | instskip(NEXT) | instid1(VALU_DEP_2)
	v_mul_hi_u32 v13, v8, v7
	v_mul_lo_u32 v14, v8, v6
	v_mul_hi_u32 v15, v8, v6
	v_mul_hi_u32 v16, v0, v7
	v_mul_lo_u32 v7, v0, v7
	v_mul_hi_u32 v17, v0, v6
	v_mul_lo_u32 v6, v0, v6
	v_add_co_u32 v13, vcc_lo, v13, v14
	v_add_co_ci_u32_e32 v14, vcc_lo, 0, v15, vcc_lo
	s_delay_alu instid0(VALU_DEP_2) | instskip(NEXT) | instid1(VALU_DEP_2)
	v_add_co_u32 v7, vcc_lo, v13, v7
	v_add_co_ci_u32_e32 v7, vcc_lo, v14, v16, vcc_lo
	v_add_co_ci_u32_e32 v13, vcc_lo, 0, v17, vcc_lo
	s_delay_alu instid0(VALU_DEP_2) | instskip(NEXT) | instid1(VALU_DEP_2)
	v_add_co_u32 v6, vcc_lo, v7, v6
	v_add_co_ci_u32_e32 v7, vcc_lo, 0, v13, vcc_lo
	s_delay_alu instid0(VALU_DEP_2) | instskip(NEXT) | instid1(VALU_DEP_2)
	v_add_co_u32 v6, vcc_lo, v8, v6
	v_add_co_ci_u32_e32 v7, vcc_lo, v0, v7, vcc_lo
	s_delay_alu instid0(VALU_DEP_2) | instskip(SKIP_1) | instid1(VALU_DEP_3)
	v_mul_hi_u32 v13, s11, v6
	v_mul_lo_u32 v15, s16, v6
	v_mul_lo_u32 v14, s11, v7
	s_delay_alu instid0(VALU_DEP_1) | instskip(SKIP_1) | instid1(VALU_DEP_2)
	v_add_nc_u32_e32 v13, v13, v14
	v_mul_lo_u32 v14, s11, v6
	v_add_nc_u32_e32 v13, v13, v15
	s_delay_alu instid0(VALU_DEP_2) | instskip(NEXT) | instid1(VALU_DEP_2)
	v_mul_hi_u32 v15, v6, v14
	v_mul_lo_u32 v16, v6, v13
	v_mul_hi_u32 v17, v6, v13
	v_mul_hi_u32 v19, v7, v14
	v_mul_lo_u32 v14, v7, v14
	v_mul_hi_u32 v20, v7, v13
	v_mul_lo_u32 v13, v7, v13
	v_add_co_u32 v15, vcc_lo, v15, v16
	v_add_co_ci_u32_e32 v16, vcc_lo, 0, v17, vcc_lo
	s_delay_alu instid0(VALU_DEP_2) | instskip(NEXT) | instid1(VALU_DEP_2)
	v_add_co_u32 v14, vcc_lo, v15, v14
	v_add_co_ci_u32_e32 v14, vcc_lo, v16, v19, vcc_lo
	v_add_co_ci_u32_e32 v15, vcc_lo, 0, v20, vcc_lo
	v_add_co_u32 v4, vcc_lo, v4, v18
	v_add_co_ci_u32_e32 v5, vcc_lo, v5, v18, vcc_lo
	s_delay_alu instid0(VALU_DEP_4) | instskip(NEXT) | instid1(VALU_DEP_4)
	v_add_co_u32 v13, vcc_lo, v14, v13
	v_add_co_ci_u32_e32 v14, vcc_lo, 0, v15, vcc_lo
	s_delay_alu instid0(VALU_DEP_4) | instskip(NEXT) | instid1(VALU_DEP_3)
	v_xor_b32_e32 v15, v4, v18
	v_add_co_u32 v13, vcc_lo, v6, v13
	s_delay_alu instid0(VALU_DEP_3) | instskip(SKIP_1) | instid1(VALU_DEP_3)
	v_add_co_ci_u32_e32 v16, vcc_lo, v7, v14, vcc_lo
	v_xor_b32_e32 v17, v5, v18
	v_mul_hi_u32 v19, v15, v13
	s_delay_alu instid0(VALU_DEP_3) | instskip(NEXT) | instid1(VALU_DEP_3)
	v_mad_u64_u32 v[4:5], null, v15, v16, 0
	v_mad_u64_u32 v[6:7], null, v17, v13, 0
	;; [unrolled: 1-line block ×3, first 2 shown]
	s_delay_alu instid0(VALU_DEP_3) | instskip(NEXT) | instid1(VALU_DEP_4)
	v_add_co_u32 v4, vcc_lo, v19, v4
	v_add_co_ci_u32_e32 v5, vcc_lo, 0, v5, vcc_lo
	s_delay_alu instid0(VALU_DEP_2) | instskip(NEXT) | instid1(VALU_DEP_2)
	v_add_co_u32 v4, vcc_lo, v4, v6
	v_add_co_ci_u32_e32 v4, vcc_lo, v5, v7, vcc_lo
	v_add_co_ci_u32_e32 v5, vcc_lo, 0, v14, vcc_lo
	s_delay_alu instid0(VALU_DEP_2) | instskip(NEXT) | instid1(VALU_DEP_2)
	v_add_co_u32 v6, vcc_lo, v4, v13
	v_add_co_ci_u32_e32 v13, vcc_lo, 0, v5, vcc_lo
	s_delay_alu instid0(VALU_DEP_2) | instskip(NEXT) | instid1(VALU_DEP_1)
	v_mad_u64_u32 v[4:5], null, s13, v6, 0
	v_mad_u64_u32 v[6:7], null, s13, v13, v[5:6]
	s_delay_alu instid0(VALU_DEP_2) | instskip(NEXT) | instid1(VALU_DEP_2)
	v_sub_co_u32 v4, vcc_lo, v15, v4
	v_sub_co_ci_u32_e32 v5, vcc_lo, v17, v6, vcc_lo
	s_delay_alu instid0(VALU_DEP_2) | instskip(NEXT) | instid1(VALU_DEP_2)
	v_sub_co_u32 v6, vcc_lo, v4, s13
	v_subrev_co_ci_u32_e32 v7, vcc_lo, 0, v5, vcc_lo
	s_delay_alu instid0(VALU_DEP_2) | instskip(SKIP_4) | instid1(VALU_DEP_4)
	v_cmp_le_u32_e32 vcc_lo, s13, v6
	v_cndmask_b32_e64 v13, 0, -1, vcc_lo
	v_cmp_le_u32_e32 vcc_lo, s13, v4
	v_cndmask_b32_e64 v14, 0, -1, vcc_lo
	v_cmp_eq_u32_e32 vcc_lo, 0, v7
	v_cndmask_b32_e32 v7, -1, v13, vcc_lo
	v_sub_co_u32 v13, vcc_lo, v6, s13
	v_cmp_eq_u32_e32 vcc_lo, 0, v5
	v_cndmask_b32_e32 v5, -1, v14, vcc_lo
	s_delay_alu instid0(VALU_DEP_4) | instskip(NEXT) | instid1(VALU_DEP_4)
	v_cmp_ne_u32_e32 vcc_lo, 0, v7
	v_cndmask_b32_e32 v6, v6, v13, vcc_lo
	s_delay_alu instid0(VALU_DEP_3) | instskip(NEXT) | instid1(VALU_DEP_2)
	v_cmp_ne_u32_e32 vcc_lo, 0, v5
	v_cndmask_b32_e32 v4, v4, v6, vcc_lo
	s_delay_alu instid0(VALU_DEP_1) | instskip(NEXT) | instid1(VALU_DEP_1)
	v_xor_b32_e32 v4, v4, v18
	v_sub_co_u32 v6, vcc_lo, v4, v18
                                        ; implicit-def: $vgpr4_vgpr5
	s_and_not1_saveexec_b32 s0, s0
	s_cbranch_execz .LBB2_25
.LBB2_28:                               ;   in Loop: Header=BB2_20 Depth=1
	v_cvt_f32_u32_e32 v5, s13
	s_delay_alu instid0(VALU_DEP_1) | instskip(SKIP_2) | instid1(VALU_DEP_1)
	v_rcp_iflag_f32_e32 v5, v5
	s_waitcnt_depctr 0xfff
	v_mul_f32_e32 v5, 0x4f7ffffe, v5
	v_cvt_u32_f32_e32 v5, v5
	s_delay_alu instid0(VALU_DEP_1) | instskip(NEXT) | instid1(VALU_DEP_1)
	v_mul_lo_u32 v6, s26, v5
	v_mul_hi_u32 v6, v5, v6
	s_delay_alu instid0(VALU_DEP_1) | instskip(NEXT) | instid1(VALU_DEP_1)
	v_add_nc_u32_e32 v5, v5, v6
	v_mul_hi_u32 v5, v4, v5
	s_delay_alu instid0(VALU_DEP_1) | instskip(NEXT) | instid1(VALU_DEP_1)
	v_mul_lo_u32 v5, v5, s13
	v_sub_nc_u32_e32 v4, v4, v5
	s_delay_alu instid0(VALU_DEP_1) | instskip(SKIP_1) | instid1(VALU_DEP_2)
	v_subrev_nc_u32_e32 v5, s13, v4
	v_cmp_le_u32_e32 vcc_lo, s13, v4
	v_cndmask_b32_e32 v4, v4, v5, vcc_lo
	s_delay_alu instid0(VALU_DEP_1) | instskip(SKIP_1) | instid1(VALU_DEP_2)
	v_subrev_nc_u32_e32 v5, s13, v4
	v_cmp_le_u32_e32 vcc_lo, s13, v4
	v_cndmask_b32_e32 v6, v4, v5, vcc_lo
	s_or_b32 exec_lo, exec_lo, s0
	s_delay_alu instid0(SALU_CYCLE_1)
	s_and_not1_b32 vcc_lo, exec_lo, s14
	s_cbranch_vccz .LBB2_26
.LBB2_29:                               ;   in Loop: Header=BB2_20 Depth=1
	v_mov_b32_e32 v4, 1.0
	s_and_not1_b32 vcc_lo, exec_lo, s20
	s_cbranch_vccz .LBB2_18
.LBB2_30:                               ;   in Loop: Header=BB2_20 Depth=1
	v_mov_b32_e32 v5, 0
	s_branch .LBB2_19
.LBB2_31:                               ;   in Loop: Header=BB2_20 Depth=1
                                        ; implicit-def: $vgpr4_vgpr5
	s_branch .LBB2_22
.LBB2_32:
	ds_load_b32 v1, v9
	s_or_b32 exec_lo, exec_lo, s2
	s_and_saveexec_b32 s2, vcc_lo
	s_cbranch_execz .LBB2_11
.LBB2_33:
	ds_load_b32 v2, v9 offset:4
	s_or_b32 exec_lo, exec_lo, s2
	s_and_saveexec_b32 s2, vcc_lo
	s_cbranch_execnz .LBB2_12
	s_branch .LBB2_13
.LBB2_34:
	s_or_b32 exec_lo, exec_lo, s1
	s_mov_b32 s0, 0
.LBB2_35:
	s_delay_alu instid0(SALU_CYCLE_1)
	s_and_not1_b32 vcc_lo, exec_lo, s0
	s_cbranch_vccnz .LBB2_51
; %bb.36:
	s_delay_alu instid0(VALU_DEP_1) | instskip(SKIP_1) | instid1(VALU_DEP_1)
	v_lshlrev_b32_e32 v11, 2, v1
	s_mov_b32 s0, exec_lo
	v_cmpx_gt_u32_e64 s12, v11
	s_cbranch_execz .LBB2_51
; %bb.37:
	v_cvt_f32_u32_e32 v0, s18
	v_cvt_f32_ubyte0_e32 v1, 0
	v_cvt_f32_u32_e32 v2, s13
	s_cmp_lg_u64 s[6:7], 0
	s_mov_b32 s2, 0
	v_rcp_iflag_f32_e32 v0, v0
	s_cselect_b32 s1, -1, 0
	v_fmac_f32_e32 v2, 0x4f800000, v1
	s_cmp_lg_u64 s[8:9], 0
	s_mul_i32 s17, s15, s12
	s_cselect_b32 s16, -1, 0
	s_sub_i32 s0, 0, s18
	v_rcp_f32_e32 v1, v2
	s_mov_b32 s3, s19
	s_lshl_b32 s20, s24, 12
	s_waitcnt_depctr 0xfff
	v_mul_f32_e32 v0, 0x4f7ffffe, v0
	s_ashr_i32 s10, s19, 31
	s_sub_i32 s21, 0, s13
	s_mov_b32 s24, s2
	v_mov_b32_e32 v14, 1.0
	v_cvt_u32_f32_e32 v0, v0
	v_dual_mov_b32 v4, 0 :: v_dual_mul_f32 v1, 0x5f7ffffc, v1
	v_mov_b32_e32 v16, 0
	s_delay_alu instid0(VALU_DEP_3) | instskip(NEXT) | instid1(VALU_DEP_3)
	v_mul_lo_u32 v2, s0, v0
	v_mul_f32_e32 v3, 0x2f800000, v1
	s_delay_alu instid0(VALU_DEP_1) | instskip(NEXT) | instid1(VALU_DEP_3)
	v_trunc_f32_e32 v3, v3
	v_mul_hi_u32 v2, v0, v2
	s_delay_alu instid0(VALU_DEP_2) | instskip(SKIP_1) | instid1(VALU_DEP_3)
	v_fmac_f32_e32 v1, 0xcf800000, v3
	v_cvt_u32_f32_e32 v12, v3
	v_add_nc_u32_e32 v15, v0, v2
	s_delay_alu instid0(VALU_DEP_3)
	v_cvt_u32_f32_e32 v13, v1
	s_branch .LBB2_39
.LBB2_38:                               ;   in Loop: Header=BB2_39 Depth=1
	s_waitcnt vmcnt(0)
	v_sub_f32_e32 v1, v1, v9
	v_sub_f32_e32 v0, v0, v9
	;; [unrolled: 1-line block ×3, first 2 shown]
	v_dual_sub_f32 v2, v2, v9 :: v_dual_add_nc_u32 v11, s20, v11
	s_delay_alu instid0(VALU_DEP_4) | instskip(NEXT) | instid1(VALU_DEP_4)
	v_mul_f32_e32 v1, v1, v10
	v_mul_f32_e32 v0, v0, v10
	s_delay_alu instid0(VALU_DEP_4) | instskip(NEXT) | instid1(VALU_DEP_4)
	v_mul_f32_e32 v3, v3, v10
	v_mul_f32_e32 v2, v2, v10
	v_cmp_le_u32_e32 vcc_lo, s12, v11
	v_add_co_u32 v5, s0, s22, v5
	v_fma_f32 v0, v0, v14, v16
	v_fma_f32 v1, v1, v14, v16
	;; [unrolled: 1-line block ×4, first 2 shown]
	v_add_co_ci_u32_e64 v6, s0, s23, v6, s0
	s_or_b32 s24, vcc_lo, s24
	global_store_b128 v[5:6], v[0:3], off
	s_and_not1_b32 exec_lo, exec_lo, s24
	s_cbranch_execz .LBB2_51
.LBB2_39:                               ; =>This Inner Loop Header: Depth=1
	v_add_nc_u32_e32 v3, s17, v11
	s_cmp_lg_u64 s[2:3], 0
	s_cbranch_scc0 .LBB2_50
; %bb.40:                               ;   in Loop: Header=BB2_39 Depth=1
	s_add_u32 s14, s18, s10
	s_mov_b32 s11, s10
	s_addc_u32 s15, s19, s10
	s_delay_alu instid0(SALU_CYCLE_1) | instskip(NEXT) | instid1(SALU_CYCLE_1)
	s_xor_b64 s[14:15], s[14:15], s[10:11]
	v_cvt_f32_u32_e32 v0, s14
	v_cvt_f32_u32_e32 v1, s15
	s_sub_u32 s0, 0, s14
	s_subb_u32 s11, 0, s15
	s_delay_alu instid0(VALU_DEP_1) | instskip(NEXT) | instid1(VALU_DEP_1)
	v_fmac_f32_e32 v0, 0x4f800000, v1
	v_rcp_f32_e32 v0, v0
	s_waitcnt_depctr 0xfff
	v_mul_f32_e32 v0, 0x5f7ffffc, v0
	s_delay_alu instid0(VALU_DEP_1) | instskip(NEXT) | instid1(VALU_DEP_1)
	v_mul_f32_e32 v1, 0x2f800000, v0
	v_trunc_f32_e32 v1, v1
	s_delay_alu instid0(VALU_DEP_1) | instskip(SKIP_1) | instid1(VALU_DEP_2)
	v_fmac_f32_e32 v0, 0xcf800000, v1
	v_cvt_u32_f32_e32 v1, v1
	v_cvt_u32_f32_e32 v0, v0
	s_delay_alu instid0(VALU_DEP_2) | instskip(NEXT) | instid1(VALU_DEP_2)
	v_mul_lo_u32 v2, s0, v1
	v_mul_hi_u32 v5, s0, v0
	v_mul_lo_u32 v6, s11, v0
	s_delay_alu instid0(VALU_DEP_2) | instskip(SKIP_1) | instid1(VALU_DEP_2)
	v_add_nc_u32_e32 v2, v5, v2
	v_mul_lo_u32 v5, s0, v0
	v_add_nc_u32_e32 v2, v2, v6
	s_delay_alu instid0(VALU_DEP_2) | instskip(NEXT) | instid1(VALU_DEP_2)
	v_mul_hi_u32 v6, v0, v5
	v_mul_lo_u32 v7, v0, v2
	v_mul_hi_u32 v8, v0, v2
	v_mul_hi_u32 v17, v1, v5
	v_mul_lo_u32 v5, v1, v5
	v_mul_hi_u32 v18, v1, v2
	v_mul_lo_u32 v2, v1, v2
	v_add_co_u32 v6, vcc_lo, v6, v7
	v_add_co_ci_u32_e32 v7, vcc_lo, 0, v8, vcc_lo
	s_delay_alu instid0(VALU_DEP_2) | instskip(NEXT) | instid1(VALU_DEP_2)
	v_add_co_u32 v5, vcc_lo, v6, v5
	v_add_co_ci_u32_e32 v5, vcc_lo, v7, v17, vcc_lo
	v_add_co_ci_u32_e32 v6, vcc_lo, 0, v18, vcc_lo
	s_delay_alu instid0(VALU_DEP_2) | instskip(NEXT) | instid1(VALU_DEP_2)
	v_add_co_u32 v2, vcc_lo, v5, v2
	v_add_co_ci_u32_e32 v5, vcc_lo, 0, v6, vcc_lo
	s_delay_alu instid0(VALU_DEP_2) | instskip(NEXT) | instid1(VALU_DEP_2)
	v_add_co_u32 v0, vcc_lo, v0, v2
	v_add_co_ci_u32_e32 v1, vcc_lo, v1, v5, vcc_lo
	s_delay_alu instid0(VALU_DEP_2) | instskip(SKIP_1) | instid1(VALU_DEP_3)
	v_mul_hi_u32 v2, s0, v0
	v_mul_lo_u32 v6, s11, v0
	v_mul_lo_u32 v5, s0, v1
	s_delay_alu instid0(VALU_DEP_1) | instskip(SKIP_1) | instid1(VALU_DEP_2)
	v_add_nc_u32_e32 v2, v2, v5
	v_mul_lo_u32 v5, s0, v0
	v_add_nc_u32_e32 v2, v2, v6
	s_delay_alu instid0(VALU_DEP_2) | instskip(NEXT) | instid1(VALU_DEP_2)
	v_mul_hi_u32 v6, v0, v5
	v_mul_lo_u32 v7, v0, v2
	v_mul_hi_u32 v8, v0, v2
	v_mul_hi_u32 v17, v1, v5
	v_mul_lo_u32 v5, v1, v5
	v_mul_hi_u32 v18, v1, v2
	v_mul_lo_u32 v2, v1, v2
	v_add_co_u32 v6, vcc_lo, v6, v7
	v_add_co_ci_u32_e32 v7, vcc_lo, 0, v8, vcc_lo
	s_delay_alu instid0(VALU_DEP_2) | instskip(NEXT) | instid1(VALU_DEP_2)
	v_add_co_u32 v5, vcc_lo, v6, v5
	v_add_co_ci_u32_e32 v5, vcc_lo, v7, v17, vcc_lo
	v_add_co_ci_u32_e32 v6, vcc_lo, 0, v18, vcc_lo
	s_delay_alu instid0(VALU_DEP_2) | instskip(NEXT) | instid1(VALU_DEP_2)
	v_add_co_u32 v2, vcc_lo, v5, v2
	v_add_co_ci_u32_e32 v5, vcc_lo, 0, v6, vcc_lo
	s_delay_alu instid0(VALU_DEP_2) | instskip(NEXT) | instid1(VALU_DEP_2)
	v_add_co_u32 v2, vcc_lo, v0, v2
	v_add_co_ci_u32_e32 v17, vcc_lo, v1, v5, vcc_lo
	s_delay_alu instid0(VALU_DEP_2) | instskip(SKIP_1) | instid1(VALU_DEP_3)
	v_mul_hi_u32 v18, v3, v2
	v_mad_u64_u32 v[5:6], null, 0, v2, 0
	v_mad_u64_u32 v[0:1], null, v3, v17, 0
	;; [unrolled: 1-line block ×3, first 2 shown]
	s_delay_alu instid0(VALU_DEP_2) | instskip(NEXT) | instid1(VALU_DEP_3)
	v_add_co_u32 v0, vcc_lo, v18, v0
	v_add_co_ci_u32_e32 v1, vcc_lo, 0, v1, vcc_lo
	s_delay_alu instid0(VALU_DEP_2) | instskip(NEXT) | instid1(VALU_DEP_2)
	v_add_co_u32 v0, vcc_lo, v0, v5
	v_add_co_ci_u32_e32 v0, vcc_lo, v1, v6, vcc_lo
	v_add_co_ci_u32_e32 v1, vcc_lo, 0, v8, vcc_lo
	s_delay_alu instid0(VALU_DEP_2) | instskip(NEXT) | instid1(VALU_DEP_2)
	v_add_co_u32 v2, vcc_lo, v0, v7
	v_add_co_ci_u32_e32 v5, vcc_lo, 0, v1, vcc_lo
	s_delay_alu instid0(VALU_DEP_2) | instskip(SKIP_1) | instid1(VALU_DEP_3)
	v_mul_lo_u32 v6, s15, v2
	v_mad_u64_u32 v[0:1], null, s14, v2, 0
	v_mul_lo_u32 v7, s14, v5
	s_delay_alu instid0(VALU_DEP_2) | instskip(NEXT) | instid1(VALU_DEP_2)
	v_sub_co_u32 v0, vcc_lo, v3, v0
	v_add3_u32 v1, v1, v7, v6
	s_delay_alu instid0(VALU_DEP_1) | instskip(NEXT) | instid1(VALU_DEP_1)
	v_sub_nc_u32_e32 v6, 0, v1
	v_subrev_co_ci_u32_e64 v6, s0, s15, v6, vcc_lo
	v_add_co_u32 v7, s0, v2, 2
	s_delay_alu instid0(VALU_DEP_1) | instskip(SKIP_3) | instid1(VALU_DEP_3)
	v_add_co_ci_u32_e64 v8, s0, 0, v5, s0
	v_sub_co_u32 v17, s0, v0, s14
	v_sub_co_ci_u32_e32 v1, vcc_lo, 0, v1, vcc_lo
	v_subrev_co_ci_u32_e64 v6, s0, 0, v6, s0
	v_cmp_le_u32_e32 vcc_lo, s14, v17
	s_delay_alu instid0(VALU_DEP_3) | instskip(SKIP_1) | instid1(VALU_DEP_4)
	v_cmp_eq_u32_e64 s0, s15, v1
	v_cndmask_b32_e64 v17, 0, -1, vcc_lo
	v_cmp_le_u32_e32 vcc_lo, s15, v6
	v_cndmask_b32_e64 v18, 0, -1, vcc_lo
	v_cmp_le_u32_e32 vcc_lo, s14, v0
	;; [unrolled: 2-line block ×3, first 2 shown]
	v_cndmask_b32_e64 v19, 0, -1, vcc_lo
	v_cmp_eq_u32_e32 vcc_lo, s15, v6
	s_delay_alu instid0(VALU_DEP_2) | instskip(SKIP_3) | instid1(VALU_DEP_3)
	v_cndmask_b32_e64 v0, v19, v0, s0
	v_cndmask_b32_e32 v6, v18, v17, vcc_lo
	v_add_co_u32 v17, vcc_lo, v2, 1
	v_add_co_ci_u32_e32 v18, vcc_lo, 0, v5, vcc_lo
	v_cmp_ne_u32_e32 vcc_lo, 0, v6
	s_delay_alu instid0(VALU_DEP_2) | instskip(SKIP_1) | instid1(VALU_DEP_2)
	v_dual_cndmask_b32 v1, v18, v8 :: v_dual_cndmask_b32 v6, v17, v7
	v_cmp_ne_u32_e32 vcc_lo, 0, v0
	v_dual_cndmask_b32 v0, v5, v1 :: v_dual_cndmask_b32 v1, v2, v6
	s_delay_alu instid0(VALU_DEP_1) | instskip(NEXT) | instid1(VALU_DEP_2)
	v_xor_b32_e32 v2, s10, v0
	v_xor_b32_e32 v1, s10, v1
	s_delay_alu instid0(VALU_DEP_1) | instskip(NEXT) | instid1(VALU_DEP_3)
	v_sub_co_u32 v0, vcc_lo, v1, s10
	v_subrev_co_ci_u32_e32 v1, vcc_lo, s10, v2, vcc_lo
	s_cbranch_execnz .LBB2_42
.LBB2_41:                               ;   in Loop: Header=BB2_39 Depth=1
	s_delay_alu instid0(VALU_DEP_1) | instskip(NEXT) | instid1(VALU_DEP_1)
	v_mul_hi_u32 v0, v3, v15
	v_mul_lo_u32 v1, v0, s18
	s_delay_alu instid0(VALU_DEP_1) | instskip(NEXT) | instid1(VALU_DEP_1)
	v_sub_nc_u32_e32 v1, v3, v1
	v_subrev_nc_u32_e32 v5, s18, v1
	v_cmp_le_u32_e32 vcc_lo, s18, v1
	s_delay_alu instid0(VALU_DEP_2) | instskip(NEXT) | instid1(VALU_DEP_1)
	v_dual_cndmask_b32 v1, v1, v5 :: v_dual_add_nc_u32 v2, 1, v0
	v_cndmask_b32_e32 v0, v0, v2, vcc_lo
	s_delay_alu instid0(VALU_DEP_2) | instskip(NEXT) | instid1(VALU_DEP_2)
	v_cmp_le_u32_e32 vcc_lo, s18, v1
	v_dual_mov_b32 v1, v4 :: v_dual_add_nc_u32 v2, 1, v0
	s_delay_alu instid0(VALU_DEP_1)
	v_cndmask_b32_e32 v0, v0, v2, vcc_lo
.LBB2_42:                               ;   in Loop: Header=BB2_39 Depth=1
	s_delay_alu instid0(VALU_DEP_1) | instskip(SKIP_1) | instid1(VALU_DEP_1)
	v_dual_mov_b32 v5, v4 :: v_dual_mov_b32 v6, v1
	s_mov_b32 s0, exec_lo
                                        ; implicit-def: $vgpr7_vgpr8
	v_cmpx_ne_u64_e32 0, v[5:6]
	s_xor_b32 s0, exec_lo, s0
	s_cbranch_execz .LBB2_44
; %bb.43:                               ;   in Loop: Header=BB2_39 Depth=1
	s_sub_u32 s11, 0, s13
	s_subb_u32 s14, 0, 0
	v_mul_hi_u32 v2, s11, v13
	v_mul_lo_u32 v5, s11, v12
	v_mul_lo_u32 v6, s14, v13
	v_ashrrev_i32_e32 v19, 31, v1
	s_delay_alu instid0(VALU_DEP_3) | instskip(SKIP_1) | instid1(VALU_DEP_2)
	v_add_nc_u32_e32 v2, v2, v5
	v_mul_lo_u32 v5, s11, v13
	v_add_nc_u32_e32 v2, v2, v6
	s_delay_alu instid0(VALU_DEP_2) | instskip(NEXT) | instid1(VALU_DEP_2)
	v_mul_hi_u32 v6, v13, v5
	v_mul_lo_u32 v7, v13, v2
	v_mul_hi_u32 v8, v13, v2
	v_mul_hi_u32 v17, v12, v5
	v_mul_lo_u32 v5, v12, v5
	v_mul_hi_u32 v18, v12, v2
	v_mul_lo_u32 v2, v12, v2
	v_add_co_u32 v6, vcc_lo, v6, v7
	v_add_co_ci_u32_e32 v7, vcc_lo, 0, v8, vcc_lo
	s_delay_alu instid0(VALU_DEP_2) | instskip(NEXT) | instid1(VALU_DEP_2)
	v_add_co_u32 v5, vcc_lo, v6, v5
	v_add_co_ci_u32_e32 v5, vcc_lo, v7, v17, vcc_lo
	v_add_co_ci_u32_e32 v6, vcc_lo, 0, v18, vcc_lo
	s_delay_alu instid0(VALU_DEP_2) | instskip(NEXT) | instid1(VALU_DEP_2)
	v_add_co_u32 v2, vcc_lo, v5, v2
	v_add_co_ci_u32_e32 v5, vcc_lo, 0, v6, vcc_lo
	s_delay_alu instid0(VALU_DEP_2) | instskip(NEXT) | instid1(VALU_DEP_2)
	v_add_co_u32 v2, vcc_lo, v13, v2
	v_add_co_ci_u32_e32 v5, vcc_lo, v12, v5, vcc_lo
	s_delay_alu instid0(VALU_DEP_2) | instskip(SKIP_1) | instid1(VALU_DEP_3)
	v_mul_hi_u32 v6, s11, v2
	v_mul_lo_u32 v8, s14, v2
	v_mul_lo_u32 v7, s11, v5
	s_delay_alu instid0(VALU_DEP_1) | instskip(SKIP_1) | instid1(VALU_DEP_2)
	v_add_nc_u32_e32 v6, v6, v7
	v_mul_lo_u32 v7, s11, v2
	v_add_nc_u32_e32 v6, v6, v8
	s_delay_alu instid0(VALU_DEP_2) | instskip(NEXT) | instid1(VALU_DEP_2)
	v_mul_hi_u32 v8, v2, v7
	v_mul_lo_u32 v17, v2, v6
	v_mul_hi_u32 v18, v2, v6
	v_mul_hi_u32 v20, v5, v7
	v_mul_lo_u32 v7, v5, v7
	v_mul_hi_u32 v21, v5, v6
	v_mul_lo_u32 v6, v5, v6
	v_add_co_u32 v8, vcc_lo, v8, v17
	v_add_co_ci_u32_e32 v17, vcc_lo, 0, v18, vcc_lo
	s_delay_alu instid0(VALU_DEP_2) | instskip(NEXT) | instid1(VALU_DEP_2)
	v_add_co_u32 v7, vcc_lo, v8, v7
	v_add_co_ci_u32_e32 v7, vcc_lo, v17, v20, vcc_lo
	v_add_co_ci_u32_e32 v8, vcc_lo, 0, v21, vcc_lo
	v_add_co_u32 v0, vcc_lo, v0, v19
	v_add_co_ci_u32_e32 v1, vcc_lo, v1, v19, vcc_lo
	s_delay_alu instid0(VALU_DEP_4) | instskip(NEXT) | instid1(VALU_DEP_4)
	v_add_co_u32 v6, vcc_lo, v7, v6
	v_add_co_ci_u32_e32 v7, vcc_lo, 0, v8, vcc_lo
	s_delay_alu instid0(VALU_DEP_4) | instskip(NEXT) | instid1(VALU_DEP_3)
	v_xor_b32_e32 v17, v0, v19
	v_add_co_u32 v2, vcc_lo, v2, v6
	s_delay_alu instid0(VALU_DEP_3) | instskip(SKIP_1) | instid1(VALU_DEP_3)
	v_add_co_ci_u32_e32 v18, vcc_lo, v5, v7, vcc_lo
	v_xor_b32_e32 v20, v1, v19
	v_mul_hi_u32 v21, v17, v2
	s_delay_alu instid0(VALU_DEP_3) | instskip(NEXT) | instid1(VALU_DEP_3)
	v_mad_u64_u32 v[0:1], null, v17, v18, 0
	v_mad_u64_u32 v[5:6], null, v20, v2, 0
	;; [unrolled: 1-line block ×3, first 2 shown]
	s_delay_alu instid0(VALU_DEP_3) | instskip(NEXT) | instid1(VALU_DEP_4)
	v_add_co_u32 v0, vcc_lo, v21, v0
	v_add_co_ci_u32_e32 v1, vcc_lo, 0, v1, vcc_lo
	s_delay_alu instid0(VALU_DEP_2) | instskip(NEXT) | instid1(VALU_DEP_2)
	v_add_co_u32 v0, vcc_lo, v0, v5
	v_add_co_ci_u32_e32 v0, vcc_lo, v1, v6, vcc_lo
	v_add_co_ci_u32_e32 v1, vcc_lo, 0, v8, vcc_lo
	s_delay_alu instid0(VALU_DEP_2) | instskip(NEXT) | instid1(VALU_DEP_2)
	v_add_co_u32 v2, vcc_lo, v0, v7
	v_add_co_ci_u32_e32 v7, vcc_lo, 0, v1, vcc_lo
	s_delay_alu instid0(VALU_DEP_2) | instskip(NEXT) | instid1(VALU_DEP_1)
	v_mad_u64_u32 v[0:1], null, s13, v2, 0
	v_mad_u64_u32 v[5:6], null, s13, v7, v[1:2]
	s_delay_alu instid0(VALU_DEP_2) | instskip(NEXT) | instid1(VALU_DEP_2)
	v_sub_co_u32 v0, vcc_lo, v17, v0
	v_sub_co_ci_u32_e32 v1, vcc_lo, v20, v5, vcc_lo
	s_delay_alu instid0(VALU_DEP_2) | instskip(NEXT) | instid1(VALU_DEP_2)
	v_sub_co_u32 v2, vcc_lo, v0, s13
	v_subrev_co_ci_u32_e32 v5, vcc_lo, 0, v1, vcc_lo
	s_delay_alu instid0(VALU_DEP_2) | instskip(SKIP_4) | instid1(VALU_DEP_4)
	v_cmp_le_u32_e32 vcc_lo, s13, v2
	v_cndmask_b32_e64 v6, 0, -1, vcc_lo
	v_cmp_le_u32_e32 vcc_lo, s13, v0
	v_cndmask_b32_e64 v7, 0, -1, vcc_lo
	v_cmp_eq_u32_e32 vcc_lo, 0, v5
	v_cndmask_b32_e32 v5, -1, v6, vcc_lo
	v_sub_co_u32 v6, vcc_lo, v2, s13
	v_cmp_eq_u32_e32 vcc_lo, 0, v1
	v_cndmask_b32_e32 v1, -1, v7, vcc_lo
	s_delay_alu instid0(VALU_DEP_4) | instskip(NEXT) | instid1(VALU_DEP_4)
	v_cmp_ne_u32_e32 vcc_lo, 0, v5
	v_cndmask_b32_e32 v2, v2, v6, vcc_lo
	s_delay_alu instid0(VALU_DEP_3) | instskip(NEXT) | instid1(VALU_DEP_2)
	v_cmp_ne_u32_e32 vcc_lo, 0, v1
	v_cndmask_b32_e32 v0, v0, v2, vcc_lo
	s_delay_alu instid0(VALU_DEP_1) | instskip(NEXT) | instid1(VALU_DEP_1)
	v_xor_b32_e32 v0, v0, v19
	v_sub_co_u32 v7, vcc_lo, v0, v19
                                        ; implicit-def: $vgpr0_vgpr1
.LBB2_44:                               ;   in Loop: Header=BB2_39 Depth=1
	s_and_not1_saveexec_b32 s0, s0
	s_cbranch_execz .LBB2_46
; %bb.45:                               ;   in Loop: Header=BB2_39 Depth=1
	v_cvt_f32_u32_e32 v1, s13
	s_delay_alu instid0(VALU_DEP_1) | instskip(SKIP_2) | instid1(VALU_DEP_1)
	v_rcp_iflag_f32_e32 v1, v1
	s_waitcnt_depctr 0xfff
	v_mul_f32_e32 v1, 0x4f7ffffe, v1
	v_cvt_u32_f32_e32 v1, v1
	s_delay_alu instid0(VALU_DEP_1) | instskip(NEXT) | instid1(VALU_DEP_1)
	v_mul_lo_u32 v2, s21, v1
	v_mul_hi_u32 v2, v1, v2
	s_delay_alu instid0(VALU_DEP_1) | instskip(NEXT) | instid1(VALU_DEP_1)
	v_add_nc_u32_e32 v1, v1, v2
	v_mul_hi_u32 v1, v0, v1
	s_delay_alu instid0(VALU_DEP_1) | instskip(NEXT) | instid1(VALU_DEP_1)
	v_mul_lo_u32 v1, v1, s13
	v_sub_nc_u32_e32 v0, v0, v1
	s_delay_alu instid0(VALU_DEP_1) | instskip(SKIP_1) | instid1(VALU_DEP_2)
	v_subrev_nc_u32_e32 v1, s13, v0
	v_cmp_le_u32_e32 vcc_lo, s13, v0
	v_cndmask_b32_e32 v0, v0, v1, vcc_lo
	s_delay_alu instid0(VALU_DEP_1) | instskip(SKIP_1) | instid1(VALU_DEP_2)
	v_subrev_nc_u32_e32 v1, s13, v0
	v_cmp_le_u32_e32 vcc_lo, s13, v0
	v_cndmask_b32_e32 v7, v0, v1, vcc_lo
.LBB2_46:                               ;   in Loop: Header=BB2_39 Depth=1
	s_or_b32 exec_lo, exec_lo, s0
	v_lshlrev_b64 v[5:6], 2, v[3:4]
	s_delay_alu instid0(VALU_DEP_1) | instskip(NEXT) | instid1(VALU_DEP_2)
	v_add_co_u32 v0, vcc_lo, s4, v5
	v_add_co_ci_u32_e32 v1, vcc_lo, s5, v6, vcc_lo
	s_and_not1_b32 vcc_lo, exec_lo, s1
	global_load_b128 v[0:3], v[0:1], off
	s_cbranch_vccnz .LBB2_48
; %bb.47:                               ;   in Loop: Header=BB2_39 Depth=1
	v_mov_b32_e32 v8, v4
	s_delay_alu instid0(VALU_DEP_1) | instskip(NEXT) | instid1(VALU_DEP_1)
	v_lshlrev_b64 v[17:18], 2, v[7:8]
	v_add_co_u32 v17, vcc_lo, s6, v17
	s_delay_alu instid0(VALU_DEP_2)
	v_add_co_ci_u32_e32 v18, vcc_lo, s7, v18, vcc_lo
	global_load_b32 v14, v[17:18], off
.LBB2_48:                               ;   in Loop: Header=BB2_39 Depth=1
	s_and_not1_b32 vcc_lo, exec_lo, s16
	s_cbranch_vccnz .LBB2_38
; %bb.49:                               ;   in Loop: Header=BB2_39 Depth=1
	v_mov_b32_e32 v8, v4
	s_delay_alu instid0(VALU_DEP_1) | instskip(NEXT) | instid1(VALU_DEP_1)
	v_lshlrev_b64 v[7:8], 2, v[7:8]
	v_add_co_u32 v7, vcc_lo, s8, v7
	s_delay_alu instid0(VALU_DEP_2)
	v_add_co_ci_u32_e32 v8, vcc_lo, s9, v8, vcc_lo
	global_load_b32 v16, v[7:8], off
	s_branch .LBB2_38
.LBB2_50:                               ;   in Loop: Header=BB2_39 Depth=1
                                        ; implicit-def: $vgpr0_vgpr1
	s_branch .LBB2_41
.LBB2_51:
	s_nop 0
	s_sendmsg sendmsg(MSG_DEALLOC_VGPRS)
	s_endpgm
.LBB2_52:
                                        ; implicit-def: $sgpr12_sgpr13
	s_branch .LBB2_2
	.section	.rodata,"a",@progbits
	.p2align	6, 0x0
	.amdhsa_kernel _ZN12_GLOBAL__N_130groupnorm_kernel_dispatch_downIfLj1024EEEvjjlfbPKT_S3_S3_PKfS5_PS1_
		.amdhsa_group_segment_fixed_size 256
		.amdhsa_private_segment_fixed_size 0
		.amdhsa_kernarg_size 328
		.amdhsa_user_sgpr_count 14
		.amdhsa_user_sgpr_dispatch_ptr 0
		.amdhsa_user_sgpr_queue_ptr 0
		.amdhsa_user_sgpr_kernarg_segment_ptr 1
		.amdhsa_user_sgpr_dispatch_id 0
		.amdhsa_user_sgpr_private_segment_size 0
		.amdhsa_wavefront_size32 1
		.amdhsa_uses_dynamic_stack 0
		.amdhsa_enable_private_segment 0
		.amdhsa_system_sgpr_workgroup_id_x 1
		.amdhsa_system_sgpr_workgroup_id_y 1
		.amdhsa_system_sgpr_workgroup_id_z 0
		.amdhsa_system_sgpr_workgroup_info 0
		.amdhsa_system_vgpr_workitem_id 0
		.amdhsa_next_free_vgpr 22
		.amdhsa_next_free_sgpr 28
		.amdhsa_reserve_vcc 1
		.amdhsa_float_round_mode_32 0
		.amdhsa_float_round_mode_16_64 0
		.amdhsa_float_denorm_mode_32 3
		.amdhsa_float_denorm_mode_16_64 3
		.amdhsa_dx10_clamp 1
		.amdhsa_ieee_mode 1
		.amdhsa_fp16_overflow 0
		.amdhsa_workgroup_processor_mode 1
		.amdhsa_memory_ordered 1
		.amdhsa_forward_progress 0
		.amdhsa_shared_vgpr_count 0
		.amdhsa_exception_fp_ieee_invalid_op 0
		.amdhsa_exception_fp_denorm_src 0
		.amdhsa_exception_fp_ieee_div_zero 0
		.amdhsa_exception_fp_ieee_overflow 0
		.amdhsa_exception_fp_ieee_underflow 0
		.amdhsa_exception_fp_ieee_inexact 0
		.amdhsa_exception_int_div_zero 0
	.end_amdhsa_kernel
	.section	.text._ZN12_GLOBAL__N_130groupnorm_kernel_dispatch_downIfLj1024EEEvjjlfbPKT_S3_S3_PKfS5_PS1_,"axG",@progbits,_ZN12_GLOBAL__N_130groupnorm_kernel_dispatch_downIfLj1024EEEvjjlfbPKT_S3_S3_PKfS5_PS1_,comdat
.Lfunc_end2:
	.size	_ZN12_GLOBAL__N_130groupnorm_kernel_dispatch_downIfLj1024EEEvjjlfbPKT_S3_S3_PKfS5_PS1_, .Lfunc_end2-_ZN12_GLOBAL__N_130groupnorm_kernel_dispatch_downIfLj1024EEEvjjlfbPKT_S3_S3_PKfS5_PS1_
                                        ; -- End function
	.section	.AMDGPU.csdata,"",@progbits
; Kernel info:
; codeLenInByte = 6144
; NumSgprs: 30
; NumVgprs: 22
; ScratchSize: 0
; MemoryBound: 0
; FloatMode: 240
; IeeeMode: 1
; LDSByteSize: 256 bytes/workgroup (compile time only)
; SGPRBlocks: 3
; VGPRBlocks: 2
; NumSGPRsForWavesPerEU: 30
; NumVGPRsForWavesPerEU: 22
; Occupancy: 16
; WaveLimiterHint : 0
; COMPUTE_PGM_RSRC2:SCRATCH_EN: 0
; COMPUTE_PGM_RSRC2:USER_SGPR: 14
; COMPUTE_PGM_RSRC2:TRAP_HANDLER: 0
; COMPUTE_PGM_RSRC2:TGID_X_EN: 1
; COMPUTE_PGM_RSRC2:TGID_Y_EN: 1
; COMPUTE_PGM_RSRC2:TGID_Z_EN: 0
; COMPUTE_PGM_RSRC2:TIDIG_COMP_CNT: 0
	.section	.text._ZN12_GLOBAL__N_128groupnorm_kernel_dispatch_upI6__halfLj1024EEEvjjlbPKT_PfS5_,"axG",@progbits,_ZN12_GLOBAL__N_128groupnorm_kernel_dispatch_upI6__halfLj1024EEEvjjlbPKT_PfS5_,comdat
	.globl	_ZN12_GLOBAL__N_128groupnorm_kernel_dispatch_upI6__halfLj1024EEEvjjlbPKT_PfS5_ ; -- Begin function _ZN12_GLOBAL__N_128groupnorm_kernel_dispatch_upI6__halfLj1024EEEvjjlbPKT_PfS5_
	.p2align	8
	.type	_ZN12_GLOBAL__N_128groupnorm_kernel_dispatch_upI6__halfLj1024EEEvjjlbPKT_PfS5_,@function
_ZN12_GLOBAL__N_128groupnorm_kernel_dispatch_upI6__halfLj1024EEEvjjlbPKT_PfS5_: ; @_ZN12_GLOBAL__N_128groupnorm_kernel_dispatch_upI6__halfLj1024EEEvjjlbPKT_PfS5_
; %bb.0:
	s_load_b32 s12, s[0:1], 0x30
	s_add_u32 s2, s0, 48
	s_addc_u32 s3, s1, 0
	v_mov_b32_e32 v1, 0
	s_mov_b32 s10, 0
	s_waitcnt lgkmcnt(0)
	s_cmp_lt_u32 s14, s12
	s_cselect_b32 s4, 12, 18
	s_delay_alu instid0(SALU_CYCLE_1)
	s_add_u32 s4, s2, s4
	s_addc_u32 s5, s3, 0
	global_load_u16 v1, v1, s[4:5]
	s_load_b128 s[4:7], s[0:1], 0x0
	s_waitcnt lgkmcnt(0)
	s_mul_i32 s7, s5, s7
	s_mul_hi_u32 s8, s5, s6
	s_mul_i32 s5, s5, s6
	s_add_i32 s11, s8, s7
	s_delay_alu instid0(SALU_CYCLE_1)
	s_cmp_lg_u64 s[10:11], 0
	s_cbranch_scc0 .LBB3_26
; %bb.1:
	v_cvt_f32_ubyte0_e32 v2, 0
	v_cvt_f32_u32_e32 v3, s4
	s_sub_u32 s8, 0, s4
	s_subb_u32 s9, 0, 0
	s_delay_alu instid0(VALU_DEP_1) | instskip(NEXT) | instid1(VALU_DEP_1)
	v_fmamk_f32 v2, v2, 0x4f800000, v3
	v_rcp_f32_e32 v2, v2
	s_waitcnt_depctr 0xfff
	v_mul_f32_e32 v2, 0x5f7ffffc, v2
	s_delay_alu instid0(VALU_DEP_1) | instskip(NEXT) | instid1(VALU_DEP_1)
	v_mul_f32_e32 v3, 0x2f800000, v2
	v_trunc_f32_e32 v3, v3
	s_delay_alu instid0(VALU_DEP_1) | instskip(SKIP_1) | instid1(VALU_DEP_2)
	v_fmamk_f32 v2, v3, 0xcf800000, v2
	v_cvt_u32_f32_e32 v3, v3
	v_cvt_u32_f32_e32 v2, v2
	s_delay_alu instid0(VALU_DEP_2) | instskip(NEXT) | instid1(VALU_DEP_2)
	v_readfirstlane_b32 s6, v3
	v_readfirstlane_b32 s7, v2
	s_delay_alu instid0(VALU_DEP_2) | instskip(NEXT) | instid1(VALU_DEP_1)
	s_mul_i32 s13, s8, s6
	s_mul_hi_u32 s17, s8, s7
	s_mul_i32 s16, s9, s7
	s_add_i32 s13, s17, s13
	s_mul_i32 s18, s8, s7
	s_add_i32 s13, s13, s16
	s_mul_hi_u32 s17, s7, s18
	s_mul_hi_u32 s19, s6, s18
	s_mul_i32 s16, s6, s18
	s_mul_hi_u32 s18, s7, s13
	s_mul_i32 s7, s7, s13
	s_mul_hi_u32 s20, s6, s13
	s_add_u32 s7, s17, s7
	s_addc_u32 s17, 0, s18
	s_add_u32 s7, s7, s16
	s_mul_i32 s13, s6, s13
	s_addc_u32 s7, s17, s19
	s_addc_u32 s16, s20, 0
	s_add_u32 s7, s7, s13
	s_addc_u32 s13, 0, s16
	v_add_co_u32 v2, s7, v2, s7
	s_delay_alu instid0(VALU_DEP_1) | instskip(SKIP_1) | instid1(VALU_DEP_1)
	s_cmp_lg_u32 s7, 0
	s_addc_u32 s6, s6, s13
	v_readfirstlane_b32 s7, v2
	s_mul_i32 s13, s8, s6
	s_delay_alu instid0(VALU_DEP_1)
	s_mul_hi_u32 s16, s8, s7
	s_mul_i32 s9, s9, s7
	s_add_i32 s13, s16, s13
	s_mul_i32 s8, s8, s7
	s_add_i32 s13, s13, s9
	s_mul_hi_u32 s16, s6, s8
	s_mul_i32 s17, s6, s8
	s_mul_hi_u32 s8, s7, s8
	s_mul_hi_u32 s18, s7, s13
	s_mul_i32 s7, s7, s13
	s_mul_hi_u32 s9, s6, s13
	s_add_u32 s7, s8, s7
	s_addc_u32 s8, 0, s18
	s_add_u32 s7, s7, s17
	s_mul_i32 s13, s6, s13
	s_addc_u32 s7, s8, s16
	s_addc_u32 s8, s9, 0
	s_add_u32 s7, s7, s13
	s_addc_u32 s8, 0, s8
	v_add_co_u32 v2, s7, v2, s7
	s_delay_alu instid0(VALU_DEP_1) | instskip(SKIP_2) | instid1(SALU_CYCLE_1)
	s_cmp_lg_u32 s7, 0
	s_addc_u32 s13, s6, s8
	s_ashr_i32 s6, s11, 31
	s_add_u32 s8, s5, s6
	s_addc_u32 s9, s11, s6
	v_readfirstlane_b32 s11, v2
	s_mov_b32 s7, s6
	s_delay_alu instid0(SALU_CYCLE_1) | instskip(NEXT) | instid1(SALU_CYCLE_1)
	s_xor_b64 s[8:9], s[8:9], s[6:7]
	s_mul_i32 s17, s8, s13
	s_delay_alu instid0(VALU_DEP_1)
	s_mul_hi_u32 s18, s8, s11
	s_mul_hi_u32 s16, s8, s13
	;; [unrolled: 1-line block ×3, first 2 shown]
	s_mul_i32 s11, s9, s11
	s_add_u32 s17, s18, s17
	s_addc_u32 s16, 0, s16
	s_mul_hi_u32 s19, s9, s13
	s_add_u32 s11, s17, s11
	s_mul_i32 s13, s9, s13
	s_addc_u32 s11, s16, s20
	s_addc_u32 s16, s19, 0
	s_add_u32 s11, s11, s13
	s_addc_u32 s13, 0, s16
	s_mul_i32 s17, s4, s11
	s_add_u32 s16, s11, 1
	v_sub_co_u32 v2, s8, s8, s17
	s_mul_hi_u32 s17, s4, s11
	s_addc_u32 s18, s13, 0
	s_mul_i32 s19, s4, s13
	s_delay_alu instid0(VALU_DEP_1)
	v_sub_co_u32 v3, s20, v2, s4
	s_add_u32 s21, s11, 2
	s_addc_u32 s22, s13, 0
	s_add_i32 s17, s17, s19
	s_cmp_lg_u32 s8, 0
	v_readfirstlane_b32 s8, v3
	s_subb_u32 s9, s9, s17
	s_cmp_lg_u32 s20, 0
	s_subb_u32 s17, s9, 0
	s_delay_alu instid0(VALU_DEP_1) | instskip(SKIP_4) | instid1(SALU_CYCLE_1)
	s_cmp_ge_u32 s8, s4
	s_cselect_b32 s8, -1, 0
	s_cmp_eq_u32 s17, 0
	v_readfirstlane_b32 s17, v2
	s_cselect_b32 s8, s8, -1
	s_cmp_lg_u32 s8, 0
	s_cselect_b32 s8, s21, s16
	s_cselect_b32 s16, s22, s18
	s_cmp_ge_u32 s17, s4
	s_cselect_b32 s17, -1, 0
	s_cmp_eq_u32 s9, 0
	s_cselect_b32 s9, s17, -1
	s_delay_alu instid0(SALU_CYCLE_1) | instskip(SKIP_2) | instid1(SALU_CYCLE_1)
	s_cmp_lg_u32 s9, 0
	s_cselect_b32 s9, s16, s13
	s_cselect_b32 s8, s8, s11
	s_xor_b64 s[8:9], s[8:9], s[6:7]
	s_delay_alu instid0(SALU_CYCLE_1)
	s_sub_u32 s8, s8, s6
	s_and_not1_b32 vcc_lo, exec_lo, s10
	s_cbranch_vccnz .LBB3_3
.LBB3_2:
	v_cvt_f32_u32_e32 v2, s4
	s_sub_i32 s7, 0, s4
	s_delay_alu instid0(VALU_DEP_1) | instskip(SKIP_2) | instid1(VALU_DEP_1)
	v_rcp_iflag_f32_e32 v2, v2
	s_waitcnt_depctr 0xfff
	v_mul_f32_e32 v2, 0x4f7ffffe, v2
	v_cvt_u32_f32_e32 v2, v2
	s_delay_alu instid0(VALU_DEP_1) | instskip(NEXT) | instid1(VALU_DEP_1)
	v_readfirstlane_b32 s6, v2
	s_mul_i32 s7, s7, s6
	s_delay_alu instid0(SALU_CYCLE_1) | instskip(NEXT) | instid1(SALU_CYCLE_1)
	s_mul_hi_u32 s7, s6, s7
	s_add_i32 s6, s6, s7
	s_delay_alu instid0(SALU_CYCLE_1) | instskip(NEXT) | instid1(SALU_CYCLE_1)
	s_mul_hi_u32 s6, s5, s6
	s_mul_i32 s7, s6, s4
	s_delay_alu instid0(SALU_CYCLE_1)
	s_sub_i32 s5, s5, s7
	s_add_i32 s7, s6, 1
	s_sub_i32 s8, s5, s4
	s_cmp_ge_u32 s5, s4
	s_cselect_b32 s6, s7, s6
	s_cselect_b32 s5, s8, s5
	s_add_i32 s7, s6, 1
	s_cmp_ge_u32 s5, s4
	s_cselect_b32 s8, s7, s6
.LBB3_3:
	s_clause 0x1
	s_load_b32 s9, s[0:1], 0x10
	s_load_b128 s[4:7], s[0:1], 0x18
	s_waitcnt vmcnt(0)
	v_and_b32_e32 v3, 0xffff, v1
	s_delay_alu instid0(VALU_DEP_1) | instskip(SKIP_3) | instid1(SALU_CYCLE_1)
	v_mad_u64_u32 v[1:2], null, s14, v3, v[0:1]
	s_waitcnt lgkmcnt(0)
	s_bitcmp1_b32 s9, 0
	s_cselect_b32 s9, -1, 0
	s_and_b32 vcc_lo, exec_lo, s9
	s_cbranch_vccnz .LBB3_9
; %bb.4:
	v_dual_mov_b32 v4, 0 :: v_dual_mov_b32 v5, 0
	s_mov_b32 s9, 0
	s_mov_b32 s10, exec_lo
	v_cmpx_gt_u32_e64 s8, v1
	s_cbranch_execz .LBB3_8
; %bb.5:
	s_load_b32 s11, s[2:3], 0x10
	v_dual_mov_b32 v4, 0 :: v_dual_mov_b32 v3, 0
	v_dual_mov_b32 v5, 0 :: v_dual_mov_b32 v6, v1
	s_waitcnt lgkmcnt(0)
	s_lshr_b32 s13, s11, 16
	s_mul_i32 s11, s15, s8
	s_cmp_lg_u32 s13, 0
	s_cselect_b32 s13, -1, 0
	s_delay_alu instid0(SALU_CYCLE_1) | instskip(SKIP_2) | instid1(SALU_CYCLE_1)
	s_cmp_lg_u32 s13, 0
	s_mov_b32 s13, 0
	s_addc_u32 s16, s12, 0
	s_lshl_b32 s16, s16, 10
	.p2align	6
.LBB3_6:                                ; =>This Inner Loop Header: Depth=1
	v_add_nc_u32_e32 v2, s11, v6
	v_add_nc_u32_e32 v6, s16, v6
	s_delay_alu instid0(VALU_DEP_2) | instskip(NEXT) | instid1(VALU_DEP_1)
	v_lshlrev_b64 v[7:8], 1, v[2:3]
	v_add_co_u32 v7, vcc_lo, s4, v7
	s_delay_alu instid0(VALU_DEP_2) | instskip(NEXT) | instid1(VALU_DEP_4)
	v_add_co_ci_u32_e32 v8, vcc_lo, s5, v8, vcc_lo
	v_cmp_le_u32_e32 vcc_lo, s8, v6
	global_load_u16 v2, v[7:8], off
	s_or_b32 s13, vcc_lo, s13
	s_waitcnt vmcnt(0)
	v_cvt_f32_f16_e32 v7, v2
	v_fma_mix_f32 v5, v2, v2, v5 op_sel_hi:[1,1,0]
	s_delay_alu instid0(VALU_DEP_2)
	v_add_f32_e32 v4, v4, v7
	s_and_not1_b32 exec_lo, exec_lo, s13
	s_cbranch_execnz .LBB3_6
; %bb.7:
	s_or_b32 exec_lo, exec_lo, s13
.LBB3_8:
	s_delay_alu instid0(SALU_CYCLE_1) | instskip(NEXT) | instid1(SALU_CYCLE_1)
	s_or_b32 exec_lo, exec_lo, s10
	s_and_not1_b32 vcc_lo, exec_lo, s9
	s_cbranch_vccz .LBB3_10
	s_branch .LBB3_15
.LBB3_9:
                                        ; implicit-def: $vgpr4
                                        ; implicit-def: $vgpr5
.LBB3_10:
	s_delay_alu instid0(VALU_DEP_1) | instskip(SKIP_3) | instid1(VALU_DEP_2)
	v_dual_mov_b32 v4, 0 :: v_dual_lshlrev_b32 v3, 2, v1
	v_mov_b32_e32 v5, 0
	s_mov_b32 s10, 0
	s_mov_b32 s9, exec_lo
	v_cmpx_gt_u32_e64 s8, v3
	s_cbranch_execz .LBB3_14
; %bb.11:
	s_load_b32 s2, s[2:3], 0x10
	v_dual_mov_b32 v4, 0 :: v_dual_mov_b32 v5, 0
	v_mov_b32_e32 v2, 0
	s_waitcnt lgkmcnt(0)
	s_lshr_b32 s2, s2, 16
	s_delay_alu instid0(SALU_CYCLE_1) | instskip(SKIP_1) | instid1(SALU_CYCLE_1)
	s_cmp_lg_u32 s2, 0
	s_cselect_b32 s2, -1, 0
	s_cmp_lg_u32 s2, 0
	s_mul_i32 s2, s15, s8
	s_addc_u32 s3, s12, 0
	s_delay_alu instid0(SALU_CYCLE_1)
	s_lshl_b32 s3, s3, 12
	.p2align	6
.LBB3_12:                               ; =>This Inner Loop Header: Depth=1
	v_add_nc_u32_e32 v1, s2, v3
	s_delay_alu instid0(VALU_DEP_1) | instskip(NEXT) | instid1(VALU_DEP_1)
	v_lshlrev_b64 v[6:7], 1, v[1:2]
	v_add_co_u32 v6, vcc_lo, s4, v6
	s_delay_alu instid0(VALU_DEP_2)
	v_add_co_ci_u32_e32 v7, vcc_lo, s5, v7, vcc_lo
	global_load_b64 v[6:7], v[6:7], off
	s_waitcnt vmcnt(0)
	v_cvt_f32_f16_e32 v1, v6
	v_lshrrev_b32_e32 v8, 16, v6
	v_fma_mix_f32 v5, v6, v6, v5 op_sel_hi:[1,1,0]
	v_cvt_f32_f16_e32 v9, v7
	s_delay_alu instid0(VALU_DEP_4) | instskip(NEXT) | instid1(VALU_DEP_4)
	v_add_f32_e32 v1, v4, v1
	v_cvt_f32_f16_e32 v4, v8
	v_lshrrev_b32_e32 v8, 16, v7
	v_fma_mix_f32 v5, v6, v6, v5 op_sel:[1,1,0] op_sel_hi:[1,1,0]
	s_delay_alu instid0(VALU_DEP_3) | instskip(NEXT) | instid1(VALU_DEP_3)
	v_add_f32_e32 v1, v1, v4
	v_cvt_f32_f16_e32 v4, v8
	s_delay_alu instid0(VALU_DEP_3) | instskip(NEXT) | instid1(VALU_DEP_3)
	v_fma_mix_f32 v5, v7, v7, v5 op_sel_hi:[1,1,0]
	v_add_f32_e32 v1, v1, v9
	v_add_nc_u32_e32 v3, s3, v3
	s_delay_alu instid0(VALU_DEP_3) | instskip(NEXT) | instid1(VALU_DEP_3)
	v_fma_mix_f32 v5, v7, v7, v5 op_sel:[1,1,0] op_sel_hi:[1,1,0]
	v_add_f32_e32 v4, v1, v4
	s_delay_alu instid0(VALU_DEP_3) | instskip(SKIP_1) | instid1(SALU_CYCLE_1)
	v_cmp_le_u32_e32 vcc_lo, s8, v3
	s_or_b32 s10, vcc_lo, s10
	s_and_not1_b32 exec_lo, exec_lo, s10
	s_cbranch_execnz .LBB3_12
; %bb.13:
	s_or_b32 exec_lo, exec_lo, s10
.LBB3_14:
	s_delay_alu instid0(SALU_CYCLE_1)
	s_or_b32 exec_lo, exec_lo, s9
.LBB3_15:
	v_mbcnt_lo_u32_b32 v6, -1, 0
	s_mov_b32 s2, exec_lo
	s_delay_alu instid0(VALU_DEP_1) | instskip(SKIP_2) | instid1(VALU_DEP_2)
	v_cmp_gt_u32_e32 vcc_lo, 16, v6
	v_cndmask_b32_e64 v1, 0, 1, vcc_lo
	v_cmp_gt_u32_e32 vcc_lo, 24, v6
	v_lshlrev_b32_e32 v1, 4, v1
	v_cndmask_b32_e64 v2, 0, 1, vcc_lo
	v_cmp_gt_u32_e32 vcc_lo, 28, v6
	s_delay_alu instid0(VALU_DEP_3) | instskip(SKIP_4) | instid1(VALU_DEP_1)
	v_add_lshl_u32 v1, v1, v6, 2
	ds_bpermute_b32 v7, v1, v5
	ds_bpermute_b32 v3, v1, v4
	s_waitcnt lgkmcnt(1)
	v_dual_add_f32 v5, v5, v7 :: v_dual_lshlrev_b32 v2, 3, v2
	v_add_lshl_u32 v2, v2, v6, 2
	s_waitcnt lgkmcnt(0)
	v_add_f32_e32 v4, v4, v3
	v_cndmask_b32_e64 v3, 0, 1, vcc_lo
	v_cmp_gt_u32_e32 vcc_lo, 30, v6
	ds_bpermute_b32 v8, v2, v5
	ds_bpermute_b32 v7, v2, v4
	s_waitcnt lgkmcnt(1)
	v_add_f32_e32 v5, v5, v8
	v_lshlrev_b32_e32 v3, 2, v3
	s_waitcnt lgkmcnt(0)
	v_add_f32_e32 v7, v4, v7
	v_cndmask_b32_e64 v4, 0, 1, vcc_lo
	v_cmp_ne_u32_e32 vcc_lo, 31, v6
	v_add_lshl_u32 v3, v3, v6, 2
	s_delay_alu instid0(VALU_DEP_3)
	v_lshlrev_b32_e32 v4, 1, v4
	ds_bpermute_b32 v8, v3, v7
	ds_bpermute_b32 v9, v3, v5
	v_add_lshl_u32 v4, v4, v6, 2
	s_waitcnt lgkmcnt(0)
	v_dual_add_f32 v7, v7, v8 :: v_dual_add_f32 v8, v5, v9
	v_add_co_ci_u32_e32 v5, vcc_lo, 0, v6, vcc_lo
	v_and_b32_e32 v6, 31, v0
	ds_bpermute_b32 v9, v4, v7
	ds_bpermute_b32 v10, v4, v8
	v_lshlrev_b32_e32 v5, 2, v5
	s_waitcnt lgkmcnt(0)
	v_dual_add_f32 v7, v7, v9 :: v_dual_add_f32 v8, v8, v10
	ds_bpermute_b32 v9, v5, v7
	ds_bpermute_b32 v10, v5, v8
	v_cmpx_eq_u32_e32 0, v6
	s_cbranch_execz .LBB3_17
; %bb.16:
	v_lshrrev_b32_e32 v11, 2, v0
	s_waitcnt lgkmcnt(0)
	v_dual_add_f32 v8, v8, v10 :: v_dual_add_f32 v7, v7, v9
	ds_store_2addr_b32 v11, v7, v8 offset1:1
.LBB3_17:
	s_or_b32 exec_lo, exec_lo, s2
	v_cmp_gt_u32_e32 vcc_lo, 32, v0
	v_dual_mov_b32 v7, 0 :: v_dual_lshlrev_b32 v8, 3, v6
	v_mov_b32_e32 v6, 0
	s_waitcnt lgkmcnt(0)
	s_barrier
	buffer_gl0_inv
	s_and_saveexec_b32 s2, vcc_lo
	s_cbranch_execnz .LBB3_24
; %bb.18:
	s_or_b32 exec_lo, exec_lo, s2
	s_and_saveexec_b32 s2, vcc_lo
	s_cbranch_execnz .LBB3_25
.LBB3_19:
	s_or_b32 exec_lo, exec_lo, s2
	s_and_saveexec_b32 s2, vcc_lo
	s_cbranch_execz .LBB3_21
.LBB3_20:
	s_waitcnt lgkmcnt(0)
	ds_bpermute_b32 v8, v1, v7
	ds_bpermute_b32 v1, v1, v6
	s_waitcnt lgkmcnt(1)
	v_add_f32_e32 v7, v7, v8
	s_waitcnt lgkmcnt(0)
	v_add_f32_e32 v1, v6, v1
	ds_bpermute_b32 v6, v2, v7
	s_waitcnt lgkmcnt(0)
	v_add_f32_e32 v6, v7, v6
	ds_bpermute_b32 v2, v2, v1
	;; [unrolled: 3-line block ×3, first 2 shown]
	ds_bpermute_b32 v3, v3, v1
	s_waitcnt lgkmcnt(0)
	v_dual_add_f32 v2, v6, v2 :: v_dual_add_f32 v1, v1, v3
	ds_bpermute_b32 v3, v4, v2
	ds_bpermute_b32 v4, v4, v1
	s_waitcnt lgkmcnt(0)
	v_dual_add_f32 v2, v2, v3 :: v_dual_add_f32 v1, v1, v4
	ds_bpermute_b32 v3, v5, v2
	ds_bpermute_b32 v4, v5, v1
	s_waitcnt lgkmcnt(0)
	v_dual_add_f32 v7, v2, v3 :: v_dual_add_f32 v6, v1, v4
.LBB3_21:
	s_or_b32 exec_lo, exec_lo, s2
	s_mov_b32 s3, 0
	s_mov_b32 s2, exec_lo
	v_cmpx_eq_u32_e32 0, v0
	s_cbranch_execz .LBB3_23
; %bb.22:
	s_load_b64 s[0:1], s[0:1], 0x28
	s_mul_i32 s2, s12, s15
	v_mov_b32_e32 v0, 0
	s_add_i32 s2, s2, s14
	s_delay_alu instid0(SALU_CYCLE_1) | instskip(NEXT) | instid1(SALU_CYCLE_1)
	s_lshl_b64 s[2:3], s[2:3], 2
	s_add_u32 s4, s6, s2
	s_addc_u32 s5, s7, s3
	s_waitcnt lgkmcnt(0)
	s_add_u32 s0, s0, s2
	s_addc_u32 s1, s1, s3
	s_clause 0x1
	global_store_b32 v0, v7, s[4:5]
	global_store_b32 v0, v6, s[0:1]
.LBB3_23:
	s_nop 0
	s_sendmsg sendmsg(MSG_DEALLOC_VGPRS)
	s_endpgm
.LBB3_24:
	ds_load_b32 v7, v8
	s_or_b32 exec_lo, exec_lo, s2
	s_and_saveexec_b32 s2, vcc_lo
	s_cbranch_execz .LBB3_19
.LBB3_25:
	ds_load_b32 v6, v8 offset:4
	s_or_b32 exec_lo, exec_lo, s2
	s_and_saveexec_b32 s2, vcc_lo
	s_cbranch_execnz .LBB3_20
	s_branch .LBB3_21
.LBB3_26:
                                        ; implicit-def: $sgpr8_sgpr9
	s_branch .LBB3_2
	.section	.rodata,"a",@progbits
	.p2align	6, 0x0
	.amdhsa_kernel _ZN12_GLOBAL__N_128groupnorm_kernel_dispatch_upI6__halfLj1024EEEvjjlbPKT_PfS5_
		.amdhsa_group_segment_fixed_size 256
		.amdhsa_private_segment_fixed_size 0
		.amdhsa_kernarg_size 304
		.amdhsa_user_sgpr_count 14
		.amdhsa_user_sgpr_dispatch_ptr 0
		.amdhsa_user_sgpr_queue_ptr 0
		.amdhsa_user_sgpr_kernarg_segment_ptr 1
		.amdhsa_user_sgpr_dispatch_id 0
		.amdhsa_user_sgpr_private_segment_size 0
		.amdhsa_wavefront_size32 1
		.amdhsa_uses_dynamic_stack 0
		.amdhsa_enable_private_segment 0
		.amdhsa_system_sgpr_workgroup_id_x 1
		.amdhsa_system_sgpr_workgroup_id_y 1
		.amdhsa_system_sgpr_workgroup_id_z 0
		.amdhsa_system_sgpr_workgroup_info 0
		.amdhsa_system_vgpr_workitem_id 0
		.amdhsa_next_free_vgpr 12
		.amdhsa_next_free_sgpr 23
		.amdhsa_reserve_vcc 1
		.amdhsa_float_round_mode_32 0
		.amdhsa_float_round_mode_16_64 0
		.amdhsa_float_denorm_mode_32 3
		.amdhsa_float_denorm_mode_16_64 3
		.amdhsa_dx10_clamp 1
		.amdhsa_ieee_mode 1
		.amdhsa_fp16_overflow 0
		.amdhsa_workgroup_processor_mode 1
		.amdhsa_memory_ordered 1
		.amdhsa_forward_progress 0
		.amdhsa_shared_vgpr_count 0
		.amdhsa_exception_fp_ieee_invalid_op 0
		.amdhsa_exception_fp_denorm_src 0
		.amdhsa_exception_fp_ieee_div_zero 0
		.amdhsa_exception_fp_ieee_overflow 0
		.amdhsa_exception_fp_ieee_underflow 0
		.amdhsa_exception_fp_ieee_inexact 0
		.amdhsa_exception_int_div_zero 0
	.end_amdhsa_kernel
	.section	.text._ZN12_GLOBAL__N_128groupnorm_kernel_dispatch_upI6__halfLj1024EEEvjjlbPKT_PfS5_,"axG",@progbits,_ZN12_GLOBAL__N_128groupnorm_kernel_dispatch_upI6__halfLj1024EEEvjjlbPKT_PfS5_,comdat
.Lfunc_end3:
	.size	_ZN12_GLOBAL__N_128groupnorm_kernel_dispatch_upI6__halfLj1024EEEvjjlbPKT_PfS5_, .Lfunc_end3-_ZN12_GLOBAL__N_128groupnorm_kernel_dispatch_upI6__halfLj1024EEEvjjlbPKT_PfS5_
                                        ; -- End function
	.section	.AMDGPU.csdata,"",@progbits
; Kernel info:
; codeLenInByte = 1956
; NumSgprs: 25
; NumVgprs: 12
; ScratchSize: 0
; MemoryBound: 0
; FloatMode: 240
; IeeeMode: 1
; LDSByteSize: 256 bytes/workgroup (compile time only)
; SGPRBlocks: 3
; VGPRBlocks: 1
; NumSGPRsForWavesPerEU: 25
; NumVGPRsForWavesPerEU: 12
; Occupancy: 16
; WaveLimiterHint : 0
; COMPUTE_PGM_RSRC2:SCRATCH_EN: 0
; COMPUTE_PGM_RSRC2:USER_SGPR: 14
; COMPUTE_PGM_RSRC2:TRAP_HANDLER: 0
; COMPUTE_PGM_RSRC2:TGID_X_EN: 1
; COMPUTE_PGM_RSRC2:TGID_Y_EN: 1
; COMPUTE_PGM_RSRC2:TGID_Z_EN: 0
; COMPUTE_PGM_RSRC2:TIDIG_COMP_CNT: 0
	.section	.text._ZN12_GLOBAL__N_130groupnorm_kernel_dispatch_downI6__halfLj1024EEEvjjlfbPKT_S4_S4_PKfS6_PS2_,"axG",@progbits,_ZN12_GLOBAL__N_130groupnorm_kernel_dispatch_downI6__halfLj1024EEEvjjlfbPKT_S4_S4_PKfS6_PS2_,comdat
	.globl	_ZN12_GLOBAL__N_130groupnorm_kernel_dispatch_downI6__halfLj1024EEEvjjlfbPKT_S4_S4_PKfS6_PS2_ ; -- Begin function _ZN12_GLOBAL__N_130groupnorm_kernel_dispatch_downI6__halfLj1024EEEvjjlfbPKT_S4_S4_PKfS6_PS2_
	.p2align	8
	.type	_ZN12_GLOBAL__N_130groupnorm_kernel_dispatch_downI6__halfLj1024EEEvjjlfbPKT_S4_S4_PKfS6_PS2_,@function
_ZN12_GLOBAL__N_130groupnorm_kernel_dispatch_downI6__halfLj1024EEEvjjlfbPKT_S4_S4_PKfS6_PS2_: ; @_ZN12_GLOBAL__N_130groupnorm_kernel_dispatch_downI6__halfLj1024EEEvjjlfbPKT_S4_S4_PKfS6_PS2_
; %bb.0:
	s_clause 0x1
	s_load_b32 s24, s[0:1], 0x48
	s_load_b128 s[16:19], s[0:1], 0x0
	s_add_u32 s2, s0, 0x48
	s_addc_u32 s3, s1, 0
	v_mov_b32_e32 v1, 0
	s_waitcnt lgkmcnt(0)
	s_cmp_lt_u32 s14, s24
	s_cselect_b32 s4, 12, 18
	s_delay_alu instid0(SALU_CYCLE_1)
	s_add_u32 s2, s2, s4
	s_addc_u32 s3, s3, 0
	s_mul_hi_u32 s4, s17, s18
	global_load_u16 v3, v1, s[2:3]
	s_mul_i32 s3, s17, s19
	s_mov_b32 s2, 0
	s_add_i32 s3, s4, s3
	s_mul_i32 s4, s17, s18
	s_cmp_lg_u64 s[2:3], 0
	s_cbranch_scc0 .LBB4_52
; %bb.1:
	v_cvt_f32_ubyte0_e32 v1, 0
	v_cvt_f32_u32_e32 v2, s16
	s_sub_u32 s7, 0, s16
	s_subb_u32 s8, 0, 0
	s_delay_alu instid0(VALU_DEP_1) | instskip(NEXT) | instid1(VALU_DEP_1)
	v_fmamk_f32 v1, v1, 0x4f800000, v2
	v_rcp_f32_e32 v1, v1
	s_waitcnt_depctr 0xfff
	v_mul_f32_e32 v1, 0x5f7ffffc, v1
	s_delay_alu instid0(VALU_DEP_1) | instskip(NEXT) | instid1(VALU_DEP_1)
	v_mul_f32_e32 v2, 0x2f800000, v1
	v_trunc_f32_e32 v2, v2
	s_delay_alu instid0(VALU_DEP_1) | instskip(SKIP_1) | instid1(VALU_DEP_2)
	v_fmamk_f32 v1, v2, 0xcf800000, v1
	v_cvt_u32_f32_e32 v2, v2
	v_cvt_u32_f32_e32 v1, v1
	s_delay_alu instid0(VALU_DEP_2) | instskip(NEXT) | instid1(VALU_DEP_2)
	v_readfirstlane_b32 s5, v2
	v_readfirstlane_b32 s6, v1
	s_delay_alu instid0(VALU_DEP_2) | instskip(NEXT) | instid1(VALU_DEP_1)
	s_mul_i32 s9, s7, s5
	s_mul_hi_u32 s11, s7, s6
	s_mul_i32 s10, s8, s6
	s_add_i32 s9, s11, s9
	s_mul_i32 s12, s7, s6
	s_add_i32 s9, s9, s10
	s_mul_hi_u32 s11, s6, s12
	s_mul_hi_u32 s13, s5, s12
	s_mul_i32 s10, s5, s12
	s_mul_hi_u32 s12, s6, s9
	s_mul_i32 s6, s6, s9
	s_mul_hi_u32 s20, s5, s9
	s_add_u32 s6, s11, s6
	s_addc_u32 s11, 0, s12
	s_add_u32 s6, s6, s10
	s_mul_i32 s9, s5, s9
	s_addc_u32 s6, s11, s13
	s_addc_u32 s10, s20, 0
	s_add_u32 s6, s6, s9
	s_addc_u32 s9, 0, s10
	v_add_co_u32 v1, s6, v1, s6
	s_delay_alu instid0(VALU_DEP_1) | instskip(SKIP_1) | instid1(VALU_DEP_1)
	s_cmp_lg_u32 s6, 0
	s_addc_u32 s5, s5, s9
	v_readfirstlane_b32 s6, v1
	s_mul_i32 s9, s7, s5
	s_delay_alu instid0(VALU_DEP_1)
	s_mul_hi_u32 s10, s7, s6
	s_mul_i32 s8, s8, s6
	s_add_i32 s9, s10, s9
	s_mul_i32 s7, s7, s6
	s_add_i32 s9, s9, s8
	s_mul_hi_u32 s10, s5, s7
	s_mul_i32 s11, s5, s7
	s_mul_hi_u32 s7, s6, s7
	s_mul_hi_u32 s12, s6, s9
	s_mul_i32 s6, s6, s9
	s_mul_hi_u32 s8, s5, s9
	s_add_u32 s6, s7, s6
	s_addc_u32 s7, 0, s12
	s_add_u32 s6, s6, s11
	s_mul_i32 s9, s5, s9
	s_addc_u32 s6, s7, s10
	s_addc_u32 s7, s8, 0
	s_add_u32 s6, s6, s9
	s_addc_u32 s7, 0, s7
	v_add_co_u32 v1, s6, v1, s6
	s_delay_alu instid0(VALU_DEP_1) | instskip(SKIP_2) | instid1(SALU_CYCLE_1)
	s_cmp_lg_u32 s6, 0
	s_addc_u32 s5, s5, s7
	s_ashr_i32 s6, s3, 31
	s_add_u32 s8, s4, s6
	s_addc_u32 s9, s3, s6
	v_readfirstlane_b32 s3, v1
	s_mov_b32 s7, s6
	s_delay_alu instid0(SALU_CYCLE_1) | instskip(NEXT) | instid1(SALU_CYCLE_1)
	s_xor_b64 s[8:9], s[8:9], s[6:7]
	s_mul_i32 s11, s8, s5
	s_delay_alu instid0(VALU_DEP_1)
	s_mul_hi_u32 s12, s8, s3
	s_mul_hi_u32 s10, s8, s5
	;; [unrolled: 1-line block ×3, first 2 shown]
	s_mul_i32 s3, s9, s3
	s_add_u32 s11, s12, s11
	s_addc_u32 s10, 0, s10
	s_mul_hi_u32 s13, s9, s5
	s_add_u32 s3, s11, s3
	s_mul_i32 s5, s9, s5
	s_addc_u32 s3, s10, s20
	s_addc_u32 s10, s13, 0
	s_add_u32 s3, s3, s5
	s_addc_u32 s5, 0, s10
	s_mul_i32 s11, s16, s3
	s_add_u32 s10, s3, 1
	v_sub_co_u32 v1, s8, s8, s11
	s_mul_hi_u32 s11, s16, s3
	s_addc_u32 s12, s5, 0
	s_mul_i32 s13, s16, s5
	s_delay_alu instid0(VALU_DEP_1)
	v_sub_co_u32 v2, s20, v1, s16
	s_add_u32 s21, s3, 2
	s_addc_u32 s22, s5, 0
	s_add_i32 s11, s11, s13
	s_cmp_lg_u32 s8, 0
	v_readfirstlane_b32 s8, v2
	s_subb_u32 s9, s9, s11
	s_cmp_lg_u32 s20, 0
	s_subb_u32 s11, s9, 0
	s_delay_alu instid0(VALU_DEP_1) | instskip(SKIP_4) | instid1(SALU_CYCLE_1)
	s_cmp_ge_u32 s8, s16
	s_cselect_b32 s8, -1, 0
	s_cmp_eq_u32 s11, 0
	v_readfirstlane_b32 s11, v1
	s_cselect_b32 s8, s8, -1
	s_cmp_lg_u32 s8, 0
	s_cselect_b32 s8, s21, s10
	s_cselect_b32 s10, s22, s12
	s_cmp_ge_u32 s11, s16
	s_cselect_b32 s11, -1, 0
	s_cmp_eq_u32 s9, 0
	s_cselect_b32 s9, s11, -1
	s_delay_alu instid0(SALU_CYCLE_1) | instskip(SKIP_2) | instid1(SALU_CYCLE_1)
	s_cmp_lg_u32 s9, 0
	s_cselect_b32 s9, s10, s5
	s_cselect_b32 s8, s8, s3
	s_xor_b64 s[8:9], s[8:9], s[6:7]
	s_delay_alu instid0(SALU_CYCLE_1)
	s_sub_u32 s12, s8, s6
	s_and_not1_b32 vcc_lo, exec_lo, s2
	s_cbranch_vccnz .LBB4_3
.LBB4_2:
	v_cvt_f32_u32_e32 v1, s16
	s_sub_i32 s3, 0, s16
	s_delay_alu instid0(VALU_DEP_1) | instskip(SKIP_2) | instid1(VALU_DEP_1)
	v_rcp_iflag_f32_e32 v1, v1
	s_waitcnt_depctr 0xfff
	v_mul_f32_e32 v1, 0x4f7ffffe, v1
	v_cvt_u32_f32_e32 v1, v1
	s_delay_alu instid0(VALU_DEP_1) | instskip(NEXT) | instid1(VALU_DEP_1)
	v_readfirstlane_b32 s2, v1
	s_mul_i32 s3, s3, s2
	s_delay_alu instid0(SALU_CYCLE_1) | instskip(NEXT) | instid1(SALU_CYCLE_1)
	s_mul_hi_u32 s3, s2, s3
	s_add_i32 s2, s2, s3
	s_delay_alu instid0(SALU_CYCLE_1) | instskip(NEXT) | instid1(SALU_CYCLE_1)
	s_mul_hi_u32 s2, s4, s2
	s_mul_i32 s3, s2, s16
	s_delay_alu instid0(SALU_CYCLE_1)
	s_sub_i32 s3, s4, s3
	s_add_i32 s4, s2, 1
	s_sub_i32 s5, s3, s16
	s_cmp_ge_u32 s3, s16
	s_cselect_b32 s2, s4, s2
	s_cselect_b32 s3, s5, s3
	s_add_i32 s4, s2, 1
	s_cmp_ge_u32 s3, s16
	s_cselect_b32 s12, s4, s2
.LBB4_3:
	s_clause 0x1
	s_load_b256 s[4:11], s[0:1], 0x18
	s_load_b128 s[20:23], s[0:1], 0x38
	v_dual_mov_b32 v6, 0 :: v_dual_mov_b32 v7, 0
	s_mov_b32 s2, exec_lo
	v_cmpx_gt_u32_e64 s24, v0
	s_cbranch_execz .LBB4_7
; %bb.4:
	v_dual_mov_b32 v6, 0 :: v_dual_mov_b32 v7, 0
	v_mov_b32_e32 v2, 0
	v_mov_b32_e32 v4, v0
	s_mul_i32 s13, s24, s15
	s_mov_b32 s3, 0
	.p2align	6
.LBB4_5:                                ; =>This Inner Loop Header: Depth=1
	s_delay_alu instid0(VALU_DEP_1) | instskip(NEXT) | instid1(VALU_DEP_1)
	v_add_nc_u32_e32 v1, s13, v4
	v_lshlrev_b64 v[8:9], 2, v[1:2]
	s_waitcnt lgkmcnt(0)
	s_delay_alu instid0(VALU_DEP_1) | instskip(NEXT) | instid1(VALU_DEP_2)
	v_add_co_u32 v10, vcc_lo, s10, v8
	v_add_co_ci_u32_e32 v11, vcc_lo, s11, v9, vcc_lo
	v_add_co_u32 v8, vcc_lo, s20, v8
	v_add_co_ci_u32_e32 v9, vcc_lo, s21, v9, vcc_lo
	global_load_b32 v1, v[10:11], off
	global_load_b32 v5, v[8:9], off
	v_add_nc_u32_e32 v4, 0x400, v4
	s_waitcnt vmcnt(1)
	v_add_f32_e32 v6, v6, v1
	s_waitcnt vmcnt(0)
	v_add_f32_e32 v7, v7, v5
	v_cmp_le_u32_e32 vcc_lo, s24, v4
	s_or_b32 s3, vcc_lo, s3
	s_delay_alu instid0(SALU_CYCLE_1)
	s_and_not1_b32 exec_lo, exec_lo, s3
	s_cbranch_execnz .LBB4_5
; %bb.6:
	s_or_b32 exec_lo, exec_lo, s3
.LBB4_7:
	s_delay_alu instid0(SALU_CYCLE_1) | instskip(SKIP_3) | instid1(VALU_DEP_1)
	s_or_b32 exec_lo, exec_lo, s2
	v_mbcnt_lo_u32_b32 v1, -1, 0
	s_mov_b32 s13, s17
	s_mov_b32 s2, exec_lo
	v_cmp_gt_u32_e32 vcc_lo, 16, v1
	v_cndmask_b32_e64 v2, 0, 1, vcc_lo
	v_cmp_gt_u32_e32 vcc_lo, 24, v1
	s_delay_alu instid0(VALU_DEP_2) | instskip(SKIP_2) | instid1(VALU_DEP_3)
	v_lshlrev_b32_e32 v2, 4, v2
	v_cndmask_b32_e64 v5, 0, 1, vcc_lo
	v_cmp_gt_u32_e32 vcc_lo, 28, v1
	v_add_lshl_u32 v4, v2, v1, 2
	ds_bpermute_b32 v2, v4, v6
	ds_bpermute_b32 v8, v4, v7
	s_waitcnt lgkmcnt(0)
	v_dual_add_f32 v2, v6, v2 :: v_dual_lshlrev_b32 v5, 3, v5
	s_delay_alu instid0(VALU_DEP_1)
	v_add_lshl_u32 v5, v5, v1, 2
	v_add_f32_e32 v7, v7, v8
	v_cndmask_b32_e64 v6, 0, 1, vcc_lo
	v_cmp_gt_u32_e32 vcc_lo, 30, v1
	ds_bpermute_b32 v8, v5, v2
	ds_bpermute_b32 v9, v5, v7
	v_lshlrev_b32_e32 v6, 2, v6
	s_delay_alu instid0(VALU_DEP_1)
	v_add_lshl_u32 v6, v6, v1, 2
	s_waitcnt lgkmcnt(1)
	v_add_f32_e32 v2, v2, v8
	s_waitcnt lgkmcnt(0)
	v_add_f32_e32 v8, v7, v9
	v_cndmask_b32_e64 v7, 0, 1, vcc_lo
	v_cmp_ne_u32_e32 vcc_lo, 31, v1
	ds_bpermute_b32 v10, v6, v8
	v_lshlrev_b32_e32 v7, 1, v7
	ds_bpermute_b32 v9, v6, v2
	v_add_lshl_u32 v7, v7, v1, 2
	v_add_co_ci_u32_e32 v1, vcc_lo, 0, v1, vcc_lo
	s_waitcnt lgkmcnt(0)
	v_dual_add_f32 v2, v2, v9 :: v_dual_add_f32 v9, v8, v10
	s_delay_alu instid0(VALU_DEP_2)
	v_lshlrev_b32_e32 v8, 2, v1
	v_and_b32_e32 v1, 31, v0
	ds_bpermute_b32 v10, v7, v2
	ds_bpermute_b32 v11, v7, v9
	s_waitcnt lgkmcnt(0)
	v_dual_add_f32 v2, v2, v10 :: v_dual_add_f32 v9, v9, v11
	ds_bpermute_b32 v10, v8, v2
	ds_bpermute_b32 v11, v8, v9
	v_cmpx_eq_u32_e32 0, v1
	s_cbranch_execz .LBB4_9
; %bb.8:
	v_lshrrev_b32_e32 v12, 2, v0
	s_waitcnt lgkmcnt(0)
	v_dual_add_f32 v9, v9, v11 :: v_dual_add_f32 v2, v2, v10
	ds_store_2addr_b32 v12, v2, v9 offset1:1
.LBB4_9:
	s_or_b32 exec_lo, exec_lo, s2
	v_cmp_gt_u32_e32 vcc_lo, 32, v0
	v_dual_mov_b32 v2, 0 :: v_dual_lshlrev_b32 v9, 3, v1
	v_mov_b32_e32 v1, 0
	s_waitcnt vmcnt(0) lgkmcnt(0)
	s_barrier
	buffer_gl0_inv
	s_and_saveexec_b32 s2, vcc_lo
	s_cbranch_execnz .LBB4_32
; %bb.10:
	s_or_b32 exec_lo, exec_lo, s2
	s_and_saveexec_b32 s2, vcc_lo
	s_cbranch_execnz .LBB4_33
.LBB4_11:
	s_or_b32 exec_lo, exec_lo, s2
	s_and_saveexec_b32 s2, vcc_lo
	s_cbranch_execz .LBB4_13
.LBB4_12:
	s_waitcnt lgkmcnt(0)
	ds_bpermute_b32 v9, v4, v1
	ds_bpermute_b32 v4, v4, v2
	s_waitcnt lgkmcnt(0)
	v_dual_add_f32 v1, v1, v9 :: v_dual_add_f32 v2, v2, v4
	ds_bpermute_b32 v4, v5, v1
	ds_bpermute_b32 v5, v5, v2
	s_waitcnt lgkmcnt(0)
	v_dual_add_f32 v1, v1, v4 :: v_dual_add_f32 v2, v2, v5
	;; [unrolled: 4-line block ×5, first 2 shown]
.LBB4_13:
	s_or_b32 exec_lo, exec_lo, s2
	s_delay_alu instid0(SALU_CYCLE_1)
	s_mov_b32 s2, exec_lo
	v_cmpx_eq_u32_e32 0, v0
	s_cbranch_execz .LBB4_15
; %bb.14:
	v_mov_b32_e32 v4, 0
	s_waitcnt lgkmcnt(0)
	ds_store_b64 v4, v[1:2]
.LBB4_15:
	s_or_b32 exec_lo, exec_lo, s2
	s_waitcnt lgkmcnt(0)
	v_mov_b32_e32 v1, 0
	s_barrier
	buffer_gl0_inv
	v_cvt_f32_u32_e32 v4, s12
	ds_load_b64 v[1:2], v1
	s_load_b64 s[0:1], s[0:1], 0x10
	v_and_b32_e32 v3, 0xffff, v3
	s_waitcnt lgkmcnt(0)
	v_div_scale_f32 v5, null, v4, v4, v1
	v_div_scale_f32 v6, null, v4, v4, v2
	v_div_scale_f32 v11, vcc_lo, v1, v4, v1
	s_delay_alu instid0(VALU_DEP_3) | instskip(NEXT) | instid1(VALU_DEP_2)
	v_rcp_f32_e32 v7, v5
	v_rcp_f32_e32 v8, v6
	s_bitcmp1_b32 s1, 0
	s_waitcnt_depctr 0xfff
	v_fma_f32 v9, -v5, v7, 1.0
	v_fma_f32 v10, -v6, v8, 1.0
	s_delay_alu instid0(VALU_DEP_1) | instskip(SKIP_1) | instid1(VALU_DEP_1)
	v_dual_fmac_f32 v8, v10, v8 :: v_dual_fmac_f32 v7, v9, v7
	v_div_scale_f32 v9, s2, v2, v4, v2
	v_mul_f32_e32 v12, v9, v8
	s_delay_alu instid0(VALU_DEP_1) | instskip(NEXT) | instid1(VALU_DEP_1)
	v_fma_f32 v14, -v6, v12, v9
	v_fmac_f32_e32 v12, v14, v8
	v_mul_f32_e32 v10, v11, v7
	s_delay_alu instid0(VALU_DEP_2) | instskip(NEXT) | instid1(VALU_DEP_2)
	v_fma_f32 v6, -v6, v12, v9
	v_fma_f32 v13, -v5, v10, v11
	s_delay_alu instid0(VALU_DEP_1) | instskip(NEXT) | instid1(VALU_DEP_1)
	v_fmac_f32_e32 v10, v13, v7
	v_fma_f32 v5, -v5, v10, v11
	s_delay_alu instid0(VALU_DEP_1) | instskip(SKIP_2) | instid1(VALU_DEP_2)
	v_div_fmas_f32 v5, v5, v7, v10
	s_mov_b32 vcc_lo, s2
	v_div_fmas_f32 v6, v6, v8, v12
	v_div_fixup_f32 v8, v5, v4, v1
	s_delay_alu instid0(VALU_DEP_2) | instskip(NEXT) | instid1(VALU_DEP_1)
	v_div_fixup_f32 v1, v6, v4, v2
	v_fma_f32 v1, -v8, v8, v1
	s_delay_alu instid0(VALU_DEP_1) | instskip(SKIP_1) | instid1(VALU_DEP_1)
	v_add_f32_e32 v1, s0, v1
	s_cselect_b32 s0, -1, 0
	v_cvt_f64_f32_e32 v[1:2], v1
	s_delay_alu instid0(VALU_DEP_1) | instskip(SKIP_3) | instid1(VALU_DEP_2)
	v_rsq_f64_e32 v[4:5], v[1:2]
	s_waitcnt_depctr 0xfff
	v_mul_f64 v[1:2], v[4:5], -v[1:2]
	v_cmp_class_f64_e64 vcc_lo, v[4:5], 0x180
	v_fma_f64 v[1:2], v[1:2], v[4:5], 1.0
	s_delay_alu instid0(VALU_DEP_1) | instskip(SKIP_1) | instid1(VALU_DEP_1)
	v_mul_f64 v[6:7], v[4:5], v[1:2]
	v_fma_f64 v[1:2], 0x3fd80000, v[1:2], 0.5
	v_fma_f64 v[1:2], v[6:7], v[1:2], v[4:5]
	s_delay_alu instid0(VALU_DEP_1) | instskip(SKIP_2) | instid1(VALU_DEP_1)
	v_dual_cndmask_b32 v2, v5, v2 :: v_dual_cndmask_b32 v1, v4, v1
	s_and_b32 vcc_lo, exec_lo, s0
	s_mov_b32 s0, -1
	v_cvt_f32_f64_e32 v9, v[1:2]
	v_mad_u64_u32 v[1:2], null, s14, v3, v[0:1]
	s_cbranch_vccnz .LBB4_35
; %bb.16:
	s_mov_b32 s1, exec_lo
	s_delay_alu instid0(VALU_DEP_1)
	v_cmpx_gt_u32_e64 s12, v1
	s_cbranch_execz .LBB4_34
; %bb.17:
	v_cvt_f32_ubyte0_e32 v2, 0
	v_cvt_f32_u32_e32 v3, s13
	v_cvt_f32_u32_e32 v0, s18
	s_cmp_lg_u64 s[6:7], 0
	s_mov_b32 s2, 0
	s_delay_alu instid0(VALU_DEP_2) | instskip(NEXT) | instid1(VALU_DEP_2)
	v_dual_mov_b32 v12, v1 :: v_dual_fmac_f32 v3, 0x4f800000, v2
	v_rcp_iflag_f32_e32 v0, v0
	s_cselect_b32 s14, -1, 0
	s_cmp_lg_u64 s[8:9], 0
	s_mul_i32 s21, s15, s12
	v_rcp_f32_e32 v2, v3
	s_cselect_b32 s20, -1, 0
	s_sub_i32 s0, 0, s18
	s_mov_b32 s3, s19
	s_lshl_b32 s25, s24, 10
	s_ashr_i32 s10, s19, 31
	s_waitcnt_depctr 0xfff
	v_mul_f32_e32 v0, 0x4f7ffffe, v0
	s_sub_i32 s26, 0, s13
	s_mov_b32 s27, s2
	v_mul_f32_e32 v2, 0x5f7ffffc, v2
	s_delay_alu instid0(VALU_DEP_1) | instskip(NEXT) | instid1(VALU_DEP_1)
	v_mul_f32_e32 v3, 0x2f800000, v2
	v_trunc_f32_e32 v5, v3
	v_mov_b32_e32 v3, 0
	v_cvt_u32_f32_e32 v4, v0
	s_delay_alu instid0(VALU_DEP_1) | instskip(NEXT) | instid1(VALU_DEP_1)
	v_mul_lo_u32 v0, s0, v4
	v_mul_hi_u32 v6, v4, v0
	v_fmac_f32_e32 v2, 0xcf800000, v5
	v_cvt_u32_f32_e32 v0, v5
	s_delay_alu instid0(VALU_DEP_3) | instskip(NEXT) | instid1(VALU_DEP_3)
	v_add_nc_u32_e32 v11, v4, v6
	v_cvt_u32_f32_e32 v10, v2
	s_branch .LBB4_20
.LBB4_18:                               ;   in Loop: Header=BB4_20 Depth=1
	v_mov_b32_e32 v7, v3
	s_delay_alu instid0(VALU_DEP_1) | instskip(NEXT) | instid1(VALU_DEP_1)
	v_lshlrev_b64 v[5:6], 1, v[6:7]
	v_add_co_u32 v5, vcc_lo, s8, v5
	s_delay_alu instid0(VALU_DEP_2)
	v_add_co_ci_u32_e32 v6, vcc_lo, s9, v6, vcc_lo
	global_load_u16 v5, v[5:6], off
	s_waitcnt vmcnt(0)
	v_cvt_f32_f16_e32 v5, v5
.LBB4_19:                               ;   in Loop: Header=BB4_20 Depth=1
	v_lshlrev_b64 v[6:7], 1, v[2:3]
	v_add_nc_u32_e32 v12, s25, v12
	s_delay_alu instid0(VALU_DEP_2) | instskip(NEXT) | instid1(VALU_DEP_3)
	v_add_co_u32 v13, vcc_lo, s4, v6
	v_add_co_ci_u32_e32 v14, vcc_lo, s5, v7, vcc_lo
	s_delay_alu instid0(VALU_DEP_3) | instskip(SKIP_4) | instid1(VALU_DEP_1)
	v_cmp_le_u32_e32 vcc_lo, s12, v12
	global_load_u16 v2, v[13:14], off
	s_or_b32 s27, vcc_lo, s27
	s_waitcnt vmcnt(0)
	v_cvt_f32_f16_e32 v2, v2
	v_sub_f32_e32 v2, v2, v8
	s_delay_alu instid0(VALU_DEP_1) | instskip(NEXT) | instid1(VALU_DEP_1)
	v_mul_f32_e32 v2, v2, v9
	v_fma_mixlo_f16 v2, v4, v2, v5
	v_add_co_u32 v4, s0, s22, v6
	s_delay_alu instid0(VALU_DEP_1)
	v_add_co_ci_u32_e64 v5, s0, s23, v7, s0
	global_store_b16 v[4:5], v2, off
	s_and_not1_b32 exec_lo, exec_lo, s27
	s_cbranch_execz .LBB4_34
.LBB4_20:                               ; =>This Inner Loop Header: Depth=1
	v_add_nc_u32_e32 v2, s21, v12
	s_cmp_lg_u64 s[2:3], 0
	s_cbranch_scc0 .LBB4_31
; %bb.21:                               ;   in Loop: Header=BB4_20 Depth=1
	s_add_u32 s16, s18, s10
	s_mov_b32 s11, s10
	s_addc_u32 s17, s19, s10
	s_delay_alu instid0(SALU_CYCLE_1) | instskip(NEXT) | instid1(SALU_CYCLE_1)
	s_xor_b64 s[16:17], s[16:17], s[10:11]
	v_cvt_f32_u32_e32 v4, s16
	v_cvt_f32_u32_e32 v5, s17
	s_sub_u32 s0, 0, s16
	s_subb_u32 s11, 0, s17
	s_delay_alu instid0(VALU_DEP_1) | instskip(NEXT) | instid1(VALU_DEP_1)
	v_fmac_f32_e32 v4, 0x4f800000, v5
	v_rcp_f32_e32 v4, v4
	s_waitcnt_depctr 0xfff
	v_mul_f32_e32 v4, 0x5f7ffffc, v4
	s_delay_alu instid0(VALU_DEP_1) | instskip(NEXT) | instid1(VALU_DEP_1)
	v_mul_f32_e32 v5, 0x2f800000, v4
	v_trunc_f32_e32 v5, v5
	s_delay_alu instid0(VALU_DEP_1) | instskip(SKIP_1) | instid1(VALU_DEP_2)
	v_fmac_f32_e32 v4, 0xcf800000, v5
	v_cvt_u32_f32_e32 v5, v5
	v_cvt_u32_f32_e32 v4, v4
	s_delay_alu instid0(VALU_DEP_2) | instskip(NEXT) | instid1(VALU_DEP_2)
	v_mul_lo_u32 v6, s0, v5
	v_mul_hi_u32 v7, s0, v4
	v_mul_lo_u32 v13, s11, v4
	s_delay_alu instid0(VALU_DEP_2) | instskip(SKIP_1) | instid1(VALU_DEP_2)
	v_add_nc_u32_e32 v6, v7, v6
	v_mul_lo_u32 v7, s0, v4
	v_add_nc_u32_e32 v6, v6, v13
	s_delay_alu instid0(VALU_DEP_2) | instskip(NEXT) | instid1(VALU_DEP_2)
	v_mul_hi_u32 v13, v4, v7
	v_mul_lo_u32 v14, v4, v6
	v_mul_hi_u32 v15, v4, v6
	v_mul_hi_u32 v16, v5, v7
	v_mul_lo_u32 v7, v5, v7
	v_mul_hi_u32 v17, v5, v6
	v_mul_lo_u32 v6, v5, v6
	v_add_co_u32 v13, vcc_lo, v13, v14
	v_add_co_ci_u32_e32 v14, vcc_lo, 0, v15, vcc_lo
	s_delay_alu instid0(VALU_DEP_2) | instskip(NEXT) | instid1(VALU_DEP_2)
	v_add_co_u32 v7, vcc_lo, v13, v7
	v_add_co_ci_u32_e32 v7, vcc_lo, v14, v16, vcc_lo
	v_add_co_ci_u32_e32 v13, vcc_lo, 0, v17, vcc_lo
	s_delay_alu instid0(VALU_DEP_2) | instskip(NEXT) | instid1(VALU_DEP_2)
	v_add_co_u32 v6, vcc_lo, v7, v6
	v_add_co_ci_u32_e32 v7, vcc_lo, 0, v13, vcc_lo
	s_delay_alu instid0(VALU_DEP_2) | instskip(NEXT) | instid1(VALU_DEP_2)
	v_add_co_u32 v4, vcc_lo, v4, v6
	v_add_co_ci_u32_e32 v5, vcc_lo, v5, v7, vcc_lo
	s_delay_alu instid0(VALU_DEP_2) | instskip(SKIP_1) | instid1(VALU_DEP_3)
	v_mul_hi_u32 v6, s0, v4
	v_mul_lo_u32 v13, s11, v4
	v_mul_lo_u32 v7, s0, v5
	s_delay_alu instid0(VALU_DEP_1) | instskip(SKIP_1) | instid1(VALU_DEP_2)
	v_add_nc_u32_e32 v6, v6, v7
	v_mul_lo_u32 v7, s0, v4
	v_add_nc_u32_e32 v6, v6, v13
	s_delay_alu instid0(VALU_DEP_2) | instskip(NEXT) | instid1(VALU_DEP_2)
	v_mul_hi_u32 v13, v4, v7
	v_mul_lo_u32 v14, v4, v6
	v_mul_hi_u32 v15, v4, v6
	v_mul_hi_u32 v16, v5, v7
	v_mul_lo_u32 v7, v5, v7
	v_mul_hi_u32 v17, v5, v6
	v_mul_lo_u32 v6, v5, v6
	v_add_co_u32 v13, vcc_lo, v13, v14
	v_add_co_ci_u32_e32 v14, vcc_lo, 0, v15, vcc_lo
	s_delay_alu instid0(VALU_DEP_2) | instskip(NEXT) | instid1(VALU_DEP_2)
	v_add_co_u32 v7, vcc_lo, v13, v7
	v_add_co_ci_u32_e32 v7, vcc_lo, v14, v16, vcc_lo
	v_add_co_ci_u32_e32 v13, vcc_lo, 0, v17, vcc_lo
	s_delay_alu instid0(VALU_DEP_2) | instskip(NEXT) | instid1(VALU_DEP_2)
	v_add_co_u32 v6, vcc_lo, v7, v6
	v_add_co_ci_u32_e32 v7, vcc_lo, 0, v13, vcc_lo
	s_delay_alu instid0(VALU_DEP_2) | instskip(NEXT) | instid1(VALU_DEP_2)
	v_add_co_u32 v13, vcc_lo, v4, v6
	v_add_co_ci_u32_e32 v15, vcc_lo, v5, v7, vcc_lo
	s_delay_alu instid0(VALU_DEP_2) | instskip(SKIP_1) | instid1(VALU_DEP_3)
	v_mul_hi_u32 v16, v2, v13
	v_mad_u64_u32 v[6:7], null, 0, v13, 0
	v_mad_u64_u32 v[4:5], null, v2, v15, 0
	;; [unrolled: 1-line block ×3, first 2 shown]
	s_delay_alu instid0(VALU_DEP_2) | instskip(NEXT) | instid1(VALU_DEP_3)
	v_add_co_u32 v4, vcc_lo, v16, v4
	v_add_co_ci_u32_e32 v5, vcc_lo, 0, v5, vcc_lo
	s_delay_alu instid0(VALU_DEP_2) | instskip(NEXT) | instid1(VALU_DEP_2)
	v_add_co_u32 v4, vcc_lo, v4, v6
	v_add_co_ci_u32_e32 v4, vcc_lo, v5, v7, vcc_lo
	v_add_co_ci_u32_e32 v5, vcc_lo, 0, v14, vcc_lo
	s_delay_alu instid0(VALU_DEP_2) | instskip(NEXT) | instid1(VALU_DEP_2)
	v_add_co_u32 v6, vcc_lo, v4, v13
	v_add_co_ci_u32_e32 v7, vcc_lo, 0, v5, vcc_lo
	s_delay_alu instid0(VALU_DEP_2) | instskip(SKIP_1) | instid1(VALU_DEP_3)
	v_mul_lo_u32 v13, s17, v6
	v_mad_u64_u32 v[4:5], null, s16, v6, 0
	v_mul_lo_u32 v14, s16, v7
	s_delay_alu instid0(VALU_DEP_2) | instskip(NEXT) | instid1(VALU_DEP_2)
	v_sub_co_u32 v4, vcc_lo, v2, v4
	v_add3_u32 v5, v5, v14, v13
	s_delay_alu instid0(VALU_DEP_1) | instskip(NEXT) | instid1(VALU_DEP_1)
	v_sub_nc_u32_e32 v13, 0, v5
	v_subrev_co_ci_u32_e64 v13, s0, s17, v13, vcc_lo
	v_add_co_u32 v14, s0, v6, 2
	s_delay_alu instid0(VALU_DEP_1) | instskip(SKIP_3) | instid1(VALU_DEP_3)
	v_add_co_ci_u32_e64 v15, s0, 0, v7, s0
	v_sub_co_u32 v16, s0, v4, s16
	v_sub_co_ci_u32_e32 v5, vcc_lo, 0, v5, vcc_lo
	v_subrev_co_ci_u32_e64 v13, s0, 0, v13, s0
	v_cmp_le_u32_e32 vcc_lo, s16, v16
	s_delay_alu instid0(VALU_DEP_3) | instskip(SKIP_1) | instid1(VALU_DEP_4)
	v_cmp_eq_u32_e64 s0, s17, v5
	v_cndmask_b32_e64 v16, 0, -1, vcc_lo
	v_cmp_le_u32_e32 vcc_lo, s17, v13
	v_cndmask_b32_e64 v17, 0, -1, vcc_lo
	v_cmp_le_u32_e32 vcc_lo, s16, v4
	;; [unrolled: 2-line block ×3, first 2 shown]
	v_cndmask_b32_e64 v18, 0, -1, vcc_lo
	v_cmp_eq_u32_e32 vcc_lo, s17, v13
	s_delay_alu instid0(VALU_DEP_2) | instskip(SKIP_3) | instid1(VALU_DEP_3)
	v_cndmask_b32_e64 v4, v18, v4, s0
	v_cndmask_b32_e32 v13, v17, v16, vcc_lo
	v_add_co_u32 v16, vcc_lo, v6, 1
	v_add_co_ci_u32_e32 v17, vcc_lo, 0, v7, vcc_lo
	v_cmp_ne_u32_e32 vcc_lo, 0, v13
	s_delay_alu instid0(VALU_DEP_3) | instskip(NEXT) | instid1(VALU_DEP_3)
	v_cndmask_b32_e32 v13, v16, v14, vcc_lo
	v_cndmask_b32_e32 v5, v17, v15, vcc_lo
	v_cmp_ne_u32_e32 vcc_lo, 0, v4
	s_delay_alu instid0(VALU_DEP_2) | instskip(NEXT) | instid1(VALU_DEP_4)
	v_cndmask_b32_e32 v4, v7, v5, vcc_lo
	v_cndmask_b32_e32 v5, v6, v13, vcc_lo
	s_delay_alu instid0(VALU_DEP_2) | instskip(NEXT) | instid1(VALU_DEP_2)
	v_xor_b32_e32 v6, s10, v4
	v_xor_b32_e32 v5, s10, v5
	s_delay_alu instid0(VALU_DEP_1) | instskip(NEXT) | instid1(VALU_DEP_3)
	v_sub_co_u32 v4, vcc_lo, v5, s10
	v_subrev_co_ci_u32_e32 v5, vcc_lo, s10, v6, vcc_lo
	s_cbranch_execnz .LBB4_23
.LBB4_22:                               ;   in Loop: Header=BB4_20 Depth=1
	s_delay_alu instid0(VALU_DEP_1) | instskip(NEXT) | instid1(VALU_DEP_1)
	v_mul_hi_u32 v4, v2, v11
	v_mul_lo_u32 v5, v4, s18
	s_delay_alu instid0(VALU_DEP_1) | instskip(NEXT) | instid1(VALU_DEP_1)
	v_sub_nc_u32_e32 v5, v2, v5
	v_subrev_nc_u32_e32 v7, s18, v5
	v_cmp_le_u32_e32 vcc_lo, s18, v5
	s_delay_alu instid0(VALU_DEP_2) | instskip(NEXT) | instid1(VALU_DEP_1)
	v_dual_cndmask_b32 v5, v5, v7 :: v_dual_add_nc_u32 v6, 1, v4
	v_cndmask_b32_e32 v4, v4, v6, vcc_lo
	s_delay_alu instid0(VALU_DEP_2) | instskip(NEXT) | instid1(VALU_DEP_2)
	v_cmp_le_u32_e32 vcc_lo, s18, v5
	v_dual_mov_b32 v5, v3 :: v_dual_add_nc_u32 v6, 1, v4
	s_delay_alu instid0(VALU_DEP_1)
	v_cndmask_b32_e32 v4, v4, v6, vcc_lo
.LBB4_23:                               ;   in Loop: Header=BB4_20 Depth=1
	s_delay_alu instid0(VALU_DEP_1) | instskip(NEXT) | instid1(VALU_DEP_1)
	v_dual_mov_b32 v6, v3 :: v_dual_mov_b32 v7, v5
	v_cmp_ne_u64_e32 vcc_lo, 0, v[6:7]
                                        ; implicit-def: $vgpr6_vgpr7
	s_and_saveexec_b32 s0, vcc_lo
	s_delay_alu instid0(SALU_CYCLE_1)
	s_xor_b32 s0, exec_lo, s0
	s_cbranch_execnz .LBB4_27
; %bb.24:                               ;   in Loop: Header=BB4_20 Depth=1
	s_and_not1_saveexec_b32 s0, s0
	s_cbranch_execnz .LBB4_28
.LBB4_25:                               ;   in Loop: Header=BB4_20 Depth=1
	s_or_b32 exec_lo, exec_lo, s0
	s_delay_alu instid0(SALU_CYCLE_1)
	s_and_not1_b32 vcc_lo, exec_lo, s14
	s_cbranch_vccnz .LBB4_29
.LBB4_26:                               ;   in Loop: Header=BB4_20 Depth=1
	v_mov_b32_e32 v7, v3
	s_delay_alu instid0(VALU_DEP_1) | instskip(NEXT) | instid1(VALU_DEP_1)
	v_lshlrev_b64 v[4:5], 1, v[6:7]
	v_add_co_u32 v4, vcc_lo, s6, v4
	s_delay_alu instid0(VALU_DEP_2)
	v_add_co_ci_u32_e32 v5, vcc_lo, s7, v5, vcc_lo
	global_load_u16 v4, v[4:5], off
	s_waitcnt vmcnt(0)
	v_cvt_f32_f16_e32 v4, v4
	s_and_not1_b32 vcc_lo, exec_lo, s20
	s_cbranch_vccz .LBB4_18
	s_branch .LBB4_30
.LBB4_27:                               ;   in Loop: Header=BB4_20 Depth=1
	s_sub_u32 s11, 0, s13
	s_subb_u32 s16, 0, 0
	v_mul_hi_u32 v6, s11, v10
	v_mul_lo_u32 v7, s11, v0
	v_mul_lo_u32 v13, s16, v10
	v_ashrrev_i32_e32 v18, 31, v5
	s_delay_alu instid0(VALU_DEP_3) | instskip(SKIP_1) | instid1(VALU_DEP_2)
	v_add_nc_u32_e32 v6, v6, v7
	v_mul_lo_u32 v7, s11, v10
	v_add_nc_u32_e32 v6, v6, v13
	s_delay_alu instid0(VALU_DEP_2) | instskip(NEXT) | instid1(VALU_DEP_2)
	v_mul_hi_u32 v13, v10, v7
	v_mul_lo_u32 v14, v10, v6
	v_mul_hi_u32 v15, v10, v6
	v_mul_hi_u32 v16, v0, v7
	v_mul_lo_u32 v7, v0, v7
	v_mul_hi_u32 v17, v0, v6
	v_mul_lo_u32 v6, v0, v6
	v_add_co_u32 v13, vcc_lo, v13, v14
	v_add_co_ci_u32_e32 v14, vcc_lo, 0, v15, vcc_lo
	s_delay_alu instid0(VALU_DEP_2) | instskip(NEXT) | instid1(VALU_DEP_2)
	v_add_co_u32 v7, vcc_lo, v13, v7
	v_add_co_ci_u32_e32 v7, vcc_lo, v14, v16, vcc_lo
	v_add_co_ci_u32_e32 v13, vcc_lo, 0, v17, vcc_lo
	s_delay_alu instid0(VALU_DEP_2) | instskip(NEXT) | instid1(VALU_DEP_2)
	v_add_co_u32 v6, vcc_lo, v7, v6
	v_add_co_ci_u32_e32 v7, vcc_lo, 0, v13, vcc_lo
	s_delay_alu instid0(VALU_DEP_2) | instskip(NEXT) | instid1(VALU_DEP_2)
	v_add_co_u32 v6, vcc_lo, v10, v6
	v_add_co_ci_u32_e32 v7, vcc_lo, v0, v7, vcc_lo
	s_delay_alu instid0(VALU_DEP_2) | instskip(SKIP_1) | instid1(VALU_DEP_3)
	v_mul_hi_u32 v13, s11, v6
	v_mul_lo_u32 v15, s16, v6
	v_mul_lo_u32 v14, s11, v7
	s_delay_alu instid0(VALU_DEP_1) | instskip(SKIP_1) | instid1(VALU_DEP_2)
	v_add_nc_u32_e32 v13, v13, v14
	v_mul_lo_u32 v14, s11, v6
	v_add_nc_u32_e32 v13, v13, v15
	s_delay_alu instid0(VALU_DEP_2) | instskip(NEXT) | instid1(VALU_DEP_2)
	v_mul_hi_u32 v15, v6, v14
	v_mul_lo_u32 v16, v6, v13
	v_mul_hi_u32 v17, v6, v13
	v_mul_hi_u32 v19, v7, v14
	v_mul_lo_u32 v14, v7, v14
	v_mul_hi_u32 v20, v7, v13
	v_mul_lo_u32 v13, v7, v13
	v_add_co_u32 v15, vcc_lo, v15, v16
	v_add_co_ci_u32_e32 v16, vcc_lo, 0, v17, vcc_lo
	s_delay_alu instid0(VALU_DEP_2) | instskip(NEXT) | instid1(VALU_DEP_2)
	v_add_co_u32 v14, vcc_lo, v15, v14
	v_add_co_ci_u32_e32 v14, vcc_lo, v16, v19, vcc_lo
	v_add_co_ci_u32_e32 v15, vcc_lo, 0, v20, vcc_lo
	v_add_co_u32 v4, vcc_lo, v4, v18
	v_add_co_ci_u32_e32 v5, vcc_lo, v5, v18, vcc_lo
	s_delay_alu instid0(VALU_DEP_4) | instskip(NEXT) | instid1(VALU_DEP_4)
	v_add_co_u32 v13, vcc_lo, v14, v13
	v_add_co_ci_u32_e32 v14, vcc_lo, 0, v15, vcc_lo
	s_delay_alu instid0(VALU_DEP_4) | instskip(NEXT) | instid1(VALU_DEP_3)
	v_xor_b32_e32 v15, v4, v18
	v_add_co_u32 v13, vcc_lo, v6, v13
	s_delay_alu instid0(VALU_DEP_3) | instskip(SKIP_1) | instid1(VALU_DEP_3)
	v_add_co_ci_u32_e32 v16, vcc_lo, v7, v14, vcc_lo
	v_xor_b32_e32 v17, v5, v18
	v_mul_hi_u32 v19, v15, v13
	s_delay_alu instid0(VALU_DEP_3) | instskip(NEXT) | instid1(VALU_DEP_3)
	v_mad_u64_u32 v[4:5], null, v15, v16, 0
	v_mad_u64_u32 v[6:7], null, v17, v13, 0
	;; [unrolled: 1-line block ×3, first 2 shown]
	s_delay_alu instid0(VALU_DEP_3) | instskip(NEXT) | instid1(VALU_DEP_4)
	v_add_co_u32 v4, vcc_lo, v19, v4
	v_add_co_ci_u32_e32 v5, vcc_lo, 0, v5, vcc_lo
	s_delay_alu instid0(VALU_DEP_2) | instskip(NEXT) | instid1(VALU_DEP_2)
	v_add_co_u32 v4, vcc_lo, v4, v6
	v_add_co_ci_u32_e32 v4, vcc_lo, v5, v7, vcc_lo
	v_add_co_ci_u32_e32 v5, vcc_lo, 0, v14, vcc_lo
	s_delay_alu instid0(VALU_DEP_2) | instskip(NEXT) | instid1(VALU_DEP_2)
	v_add_co_u32 v6, vcc_lo, v4, v13
	v_add_co_ci_u32_e32 v13, vcc_lo, 0, v5, vcc_lo
	s_delay_alu instid0(VALU_DEP_2) | instskip(NEXT) | instid1(VALU_DEP_1)
	v_mad_u64_u32 v[4:5], null, s13, v6, 0
	v_mad_u64_u32 v[6:7], null, s13, v13, v[5:6]
	s_delay_alu instid0(VALU_DEP_2) | instskip(NEXT) | instid1(VALU_DEP_2)
	v_sub_co_u32 v4, vcc_lo, v15, v4
	v_sub_co_ci_u32_e32 v5, vcc_lo, v17, v6, vcc_lo
	s_delay_alu instid0(VALU_DEP_2) | instskip(NEXT) | instid1(VALU_DEP_2)
	v_sub_co_u32 v6, vcc_lo, v4, s13
	v_subrev_co_ci_u32_e32 v7, vcc_lo, 0, v5, vcc_lo
	s_delay_alu instid0(VALU_DEP_2) | instskip(SKIP_4) | instid1(VALU_DEP_4)
	v_cmp_le_u32_e32 vcc_lo, s13, v6
	v_cndmask_b32_e64 v13, 0, -1, vcc_lo
	v_cmp_le_u32_e32 vcc_lo, s13, v4
	v_cndmask_b32_e64 v14, 0, -1, vcc_lo
	v_cmp_eq_u32_e32 vcc_lo, 0, v7
	v_cndmask_b32_e32 v7, -1, v13, vcc_lo
	v_sub_co_u32 v13, vcc_lo, v6, s13
	v_cmp_eq_u32_e32 vcc_lo, 0, v5
	v_cndmask_b32_e32 v5, -1, v14, vcc_lo
	s_delay_alu instid0(VALU_DEP_4) | instskip(NEXT) | instid1(VALU_DEP_4)
	v_cmp_ne_u32_e32 vcc_lo, 0, v7
	v_cndmask_b32_e32 v6, v6, v13, vcc_lo
	s_delay_alu instid0(VALU_DEP_3) | instskip(NEXT) | instid1(VALU_DEP_2)
	v_cmp_ne_u32_e32 vcc_lo, 0, v5
	v_cndmask_b32_e32 v4, v4, v6, vcc_lo
	s_delay_alu instid0(VALU_DEP_1) | instskip(NEXT) | instid1(VALU_DEP_1)
	v_xor_b32_e32 v4, v4, v18
	v_sub_co_u32 v6, vcc_lo, v4, v18
                                        ; implicit-def: $vgpr4_vgpr5
	s_and_not1_saveexec_b32 s0, s0
	s_cbranch_execz .LBB4_25
.LBB4_28:                               ;   in Loop: Header=BB4_20 Depth=1
	v_cvt_f32_u32_e32 v5, s13
	s_delay_alu instid0(VALU_DEP_1) | instskip(SKIP_2) | instid1(VALU_DEP_1)
	v_rcp_iflag_f32_e32 v5, v5
	s_waitcnt_depctr 0xfff
	v_mul_f32_e32 v5, 0x4f7ffffe, v5
	v_cvt_u32_f32_e32 v5, v5
	s_delay_alu instid0(VALU_DEP_1) | instskip(NEXT) | instid1(VALU_DEP_1)
	v_mul_lo_u32 v6, s26, v5
	v_mul_hi_u32 v6, v5, v6
	s_delay_alu instid0(VALU_DEP_1) | instskip(NEXT) | instid1(VALU_DEP_1)
	v_add_nc_u32_e32 v5, v5, v6
	v_mul_hi_u32 v5, v4, v5
	s_delay_alu instid0(VALU_DEP_1) | instskip(NEXT) | instid1(VALU_DEP_1)
	v_mul_lo_u32 v5, v5, s13
	v_sub_nc_u32_e32 v4, v4, v5
	s_delay_alu instid0(VALU_DEP_1) | instskip(SKIP_1) | instid1(VALU_DEP_2)
	v_subrev_nc_u32_e32 v5, s13, v4
	v_cmp_le_u32_e32 vcc_lo, s13, v4
	v_cndmask_b32_e32 v4, v4, v5, vcc_lo
	s_delay_alu instid0(VALU_DEP_1) | instskip(SKIP_1) | instid1(VALU_DEP_2)
	v_subrev_nc_u32_e32 v5, s13, v4
	v_cmp_le_u32_e32 vcc_lo, s13, v4
	v_cndmask_b32_e32 v6, v4, v5, vcc_lo
	s_or_b32 exec_lo, exec_lo, s0
	s_delay_alu instid0(SALU_CYCLE_1)
	s_and_not1_b32 vcc_lo, exec_lo, s14
	s_cbranch_vccz .LBB4_26
.LBB4_29:                               ;   in Loop: Header=BB4_20 Depth=1
	v_mov_b32_e32 v4, 1.0
	s_and_not1_b32 vcc_lo, exec_lo, s20
	s_cbranch_vccz .LBB4_18
.LBB4_30:                               ;   in Loop: Header=BB4_20 Depth=1
	v_mov_b32_e32 v5, 0
	s_branch .LBB4_19
.LBB4_31:                               ;   in Loop: Header=BB4_20 Depth=1
                                        ; implicit-def: $vgpr4_vgpr5
	s_branch .LBB4_22
.LBB4_32:
	ds_load_b32 v1, v9
	s_or_b32 exec_lo, exec_lo, s2
	s_and_saveexec_b32 s2, vcc_lo
	s_cbranch_execz .LBB4_11
.LBB4_33:
	ds_load_b32 v2, v9 offset:4
	s_or_b32 exec_lo, exec_lo, s2
	s_and_saveexec_b32 s2, vcc_lo
	s_cbranch_execnz .LBB4_12
	s_branch .LBB4_13
.LBB4_34:
	s_or_b32 exec_lo, exec_lo, s1
	s_mov_b32 s0, 0
.LBB4_35:
	s_delay_alu instid0(SALU_CYCLE_1)
	s_and_not1_b32 vcc_lo, exec_lo, s0
	s_cbranch_vccnz .LBB4_51
; %bb.36:
	s_delay_alu instid0(VALU_DEP_1) | instskip(SKIP_1) | instid1(VALU_DEP_1)
	v_lshlrev_b32_e32 v10, 2, v1
	s_mov_b32 s0, exec_lo
	v_cmpx_gt_u32_e64 s12, v10
	s_cbranch_execz .LBB4_51
; %bb.37:
	v_cvt_f32_u32_e32 v0, s18
	v_cvt_f32_ubyte0_e32 v1, 0
	v_cvt_f32_u32_e32 v2, s13
	s_cmp_lg_u64 s[6:7], 0
	s_mov_b32 s2, 0
	v_rcp_iflag_f32_e32 v0, v0
	s_cselect_b32 s1, -1, 0
	v_fmac_f32_e32 v2, 0x4f800000, v1
	s_cmp_lg_u64 s[8:9], 0
	s_mul_i32 s17, s15, s12
	s_cselect_b32 s16, -1, 0
	s_sub_i32 s0, 0, s18
	v_rcp_f32_e32 v1, v2
	s_mov_b32 s3, s19
	s_lshl_b32 s20, s24, 12
	s_waitcnt_depctr 0xfff
	v_dual_mul_f32 v0, 0x4f7ffffe, v0 :: v_dual_mov_b32 v15, 0
	s_ashr_i32 s10, s19, 31
	s_sub_i32 s21, 0, s13
	s_mov_b32 s24, s2
	s_delay_alu instid0(VALU_DEP_1) | instskip(SKIP_2) | instid1(VALU_DEP_3)
	v_cvt_u32_f32_e32 v0, v0
	v_mov_b32_e32 v14, 1.0
	v_mul_f32_e32 v2, 0x5f7ffffc, v1
	v_mul_lo_u32 v1, s0, v0
	s_delay_alu instid0(VALU_DEP_1) | instskip(SKIP_1) | instid1(VALU_DEP_2)
	v_mul_hi_u32 v4, v0, v1
	v_mov_b32_e32 v1, 0
	v_add_nc_u32_e32 v13, v0, v4
	v_mul_f32_e32 v3, 0x2f800000, v2
	s_delay_alu instid0(VALU_DEP_1) | instskip(NEXT) | instid1(VALU_DEP_1)
	v_trunc_f32_e32 v3, v3
	v_fmac_f32_e32 v2, 0xcf800000, v3
	v_cvt_u32_f32_e32 v11, v3
	s_delay_alu instid0(VALU_DEP_2)
	v_cvt_u32_f32_e32 v12, v2
	s_branch .LBB4_39
.LBB4_38:                               ;   in Loop: Header=BB4_39 Depth=1
	s_waitcnt vmcnt(0)
	v_lshrrev_b32_e32 v0, 16, v6
	v_cvt_f32_f16_e32 v5, v7
	v_cvt_f32_f16_e32 v6, v6
	v_lshrrev_b32_e32 v4, 16, v7
	v_add_nc_u32_e32 v10, s20, v10
	v_cvt_f32_f16_e32 v0, v0
	v_add_co_u32 v2, vcc_lo, s22, v2
	v_sub_f32_e32 v6, v6, v8
	v_sub_f32_e32 v5, v5, v8
	v_cvt_f32_f16_e32 v4, v4
	v_add_co_ci_u32_e32 v3, vcc_lo, s23, v3, vcc_lo
	s_delay_alu instid0(VALU_DEP_4) | instskip(NEXT) | instid1(VALU_DEP_3)
	v_mul_f32_e32 v6, v6, v9
	v_dual_mul_f32 v5, v5, v9 :: v_dual_sub_f32 v4, v4, v8
	v_cmp_le_u32_e32 vcc_lo, s12, v10
	s_delay_alu instid0(VALU_DEP_3) | instskip(NEXT) | instid1(VALU_DEP_3)
	v_fma_mixlo_f16 v6, v6, v14, v15
	v_fma_mixlo_f16 v5, v5, v14, v15
	v_sub_f32_e32 v0, v0, v8
	v_mul_f32_e32 v4, v4, v9
	s_or_b32 s24, vcc_lo, s24
	v_and_b32_e32 v6, 0xffff, v6
	v_and_b32_e32 v5, 0xffff, v5
	v_mul_f32_e32 v0, v0, v9
	v_fma_mixlo_f16 v4, v4, v14, v15
	s_delay_alu instid0(VALU_DEP_2) | instskip(NEXT) | instid1(VALU_DEP_2)
	v_fma_mixlo_f16 v0, v0, v14, v15
	v_lshlrev_b32_e32 v4, 16, v4
	s_delay_alu instid0(VALU_DEP_2) | instskip(NEXT) | instid1(VALU_DEP_2)
	v_lshlrev_b32_e32 v0, 16, v0
	v_or_b32_e32 v5, v4, v5
	s_delay_alu instid0(VALU_DEP_2)
	v_or_b32_e32 v4, v0, v6
	global_store_b64 v[2:3], v[4:5], off
	s_and_not1_b32 exec_lo, exec_lo, s24
	s_cbranch_execz .LBB4_51
.LBB4_39:                               ; =>This Inner Loop Header: Depth=1
	v_add_nc_u32_e32 v0, s17, v10
	s_cmp_lg_u64 s[2:3], 0
	s_cbranch_scc0 .LBB4_50
; %bb.40:                               ;   in Loop: Header=BB4_39 Depth=1
	s_add_u32 s14, s18, s10
	s_mov_b32 s11, s10
	s_addc_u32 s15, s19, s10
	s_delay_alu instid0(SALU_CYCLE_1) | instskip(NEXT) | instid1(SALU_CYCLE_1)
	s_xor_b64 s[14:15], s[14:15], s[10:11]
	v_cvt_f32_u32_e32 v2, s14
	v_cvt_f32_u32_e32 v3, s15
	s_sub_u32 s0, 0, s14
	s_subb_u32 s11, 0, s15
	s_delay_alu instid0(VALU_DEP_1) | instskip(NEXT) | instid1(VALU_DEP_1)
	v_fmac_f32_e32 v2, 0x4f800000, v3
	v_rcp_f32_e32 v2, v2
	s_waitcnt_depctr 0xfff
	v_mul_f32_e32 v2, 0x5f7ffffc, v2
	s_delay_alu instid0(VALU_DEP_1) | instskip(NEXT) | instid1(VALU_DEP_1)
	v_mul_f32_e32 v3, 0x2f800000, v2
	v_trunc_f32_e32 v3, v3
	s_delay_alu instid0(VALU_DEP_1) | instskip(SKIP_1) | instid1(VALU_DEP_2)
	v_fmac_f32_e32 v2, 0xcf800000, v3
	v_cvt_u32_f32_e32 v3, v3
	v_cvt_u32_f32_e32 v2, v2
	s_delay_alu instid0(VALU_DEP_2) | instskip(NEXT) | instid1(VALU_DEP_2)
	v_mul_lo_u32 v4, s0, v3
	v_mul_hi_u32 v5, s0, v2
	v_mul_lo_u32 v6, s11, v2
	s_delay_alu instid0(VALU_DEP_2) | instskip(SKIP_1) | instid1(VALU_DEP_2)
	v_add_nc_u32_e32 v4, v5, v4
	v_mul_lo_u32 v5, s0, v2
	v_add_nc_u32_e32 v4, v4, v6
	s_delay_alu instid0(VALU_DEP_2) | instskip(NEXT) | instid1(VALU_DEP_2)
	v_mul_hi_u32 v6, v2, v5
	v_mul_lo_u32 v7, v2, v4
	v_mul_hi_u32 v16, v2, v4
	v_mul_hi_u32 v17, v3, v5
	v_mul_lo_u32 v5, v3, v5
	v_mul_hi_u32 v18, v3, v4
	v_mul_lo_u32 v4, v3, v4
	v_add_co_u32 v6, vcc_lo, v6, v7
	v_add_co_ci_u32_e32 v7, vcc_lo, 0, v16, vcc_lo
	s_delay_alu instid0(VALU_DEP_2) | instskip(NEXT) | instid1(VALU_DEP_2)
	v_add_co_u32 v5, vcc_lo, v6, v5
	v_add_co_ci_u32_e32 v5, vcc_lo, v7, v17, vcc_lo
	v_add_co_ci_u32_e32 v6, vcc_lo, 0, v18, vcc_lo
	s_delay_alu instid0(VALU_DEP_2) | instskip(NEXT) | instid1(VALU_DEP_2)
	v_add_co_u32 v4, vcc_lo, v5, v4
	v_add_co_ci_u32_e32 v5, vcc_lo, 0, v6, vcc_lo
	s_delay_alu instid0(VALU_DEP_2) | instskip(NEXT) | instid1(VALU_DEP_2)
	v_add_co_u32 v2, vcc_lo, v2, v4
	v_add_co_ci_u32_e32 v3, vcc_lo, v3, v5, vcc_lo
	s_delay_alu instid0(VALU_DEP_2) | instskip(SKIP_1) | instid1(VALU_DEP_3)
	v_mul_hi_u32 v4, s0, v2
	v_mul_lo_u32 v6, s11, v2
	v_mul_lo_u32 v5, s0, v3
	s_delay_alu instid0(VALU_DEP_1) | instskip(SKIP_1) | instid1(VALU_DEP_2)
	v_add_nc_u32_e32 v4, v4, v5
	v_mul_lo_u32 v5, s0, v2
	v_add_nc_u32_e32 v4, v4, v6
	s_delay_alu instid0(VALU_DEP_2) | instskip(NEXT) | instid1(VALU_DEP_2)
	v_mul_hi_u32 v6, v2, v5
	v_mul_lo_u32 v7, v2, v4
	v_mul_hi_u32 v16, v2, v4
	v_mul_hi_u32 v17, v3, v5
	v_mul_lo_u32 v5, v3, v5
	v_mul_hi_u32 v18, v3, v4
	v_mul_lo_u32 v4, v3, v4
	v_add_co_u32 v6, vcc_lo, v6, v7
	v_add_co_ci_u32_e32 v7, vcc_lo, 0, v16, vcc_lo
	s_delay_alu instid0(VALU_DEP_2) | instskip(NEXT) | instid1(VALU_DEP_2)
	v_add_co_u32 v5, vcc_lo, v6, v5
	v_add_co_ci_u32_e32 v5, vcc_lo, v7, v17, vcc_lo
	v_add_co_ci_u32_e32 v6, vcc_lo, 0, v18, vcc_lo
	s_delay_alu instid0(VALU_DEP_2) | instskip(NEXT) | instid1(VALU_DEP_2)
	v_add_co_u32 v4, vcc_lo, v5, v4
	v_add_co_ci_u32_e32 v5, vcc_lo, 0, v6, vcc_lo
	s_delay_alu instid0(VALU_DEP_2) | instskip(NEXT) | instid1(VALU_DEP_2)
	v_add_co_u32 v6, vcc_lo, v2, v4
	v_add_co_ci_u32_e32 v16, vcc_lo, v3, v5, vcc_lo
	s_delay_alu instid0(VALU_DEP_2) | instskip(SKIP_1) | instid1(VALU_DEP_3)
	v_mul_hi_u32 v17, v0, v6
	v_mad_u64_u32 v[4:5], null, 0, v6, 0
	v_mad_u64_u32 v[2:3], null, v0, v16, 0
	;; [unrolled: 1-line block ×3, first 2 shown]
	s_delay_alu instid0(VALU_DEP_2) | instskip(NEXT) | instid1(VALU_DEP_3)
	v_add_co_u32 v2, vcc_lo, v17, v2
	v_add_co_ci_u32_e32 v3, vcc_lo, 0, v3, vcc_lo
	s_delay_alu instid0(VALU_DEP_2) | instskip(NEXT) | instid1(VALU_DEP_2)
	v_add_co_u32 v2, vcc_lo, v2, v4
	v_add_co_ci_u32_e32 v2, vcc_lo, v3, v5, vcc_lo
	v_add_co_ci_u32_e32 v3, vcc_lo, 0, v7, vcc_lo
	s_delay_alu instid0(VALU_DEP_2) | instskip(NEXT) | instid1(VALU_DEP_2)
	v_add_co_u32 v4, vcc_lo, v2, v6
	v_add_co_ci_u32_e32 v5, vcc_lo, 0, v3, vcc_lo
	s_delay_alu instid0(VALU_DEP_2) | instskip(SKIP_1) | instid1(VALU_DEP_3)
	v_mul_lo_u32 v6, s15, v4
	v_mad_u64_u32 v[2:3], null, s14, v4, 0
	v_mul_lo_u32 v7, s14, v5
	s_delay_alu instid0(VALU_DEP_2) | instskip(NEXT) | instid1(VALU_DEP_2)
	v_sub_co_u32 v2, vcc_lo, v0, v2
	v_add3_u32 v3, v3, v7, v6
	s_delay_alu instid0(VALU_DEP_1) | instskip(NEXT) | instid1(VALU_DEP_1)
	v_sub_nc_u32_e32 v6, 0, v3
	v_subrev_co_ci_u32_e64 v6, s0, s15, v6, vcc_lo
	v_add_co_u32 v7, s0, v4, 2
	s_delay_alu instid0(VALU_DEP_1) | instskip(SKIP_3) | instid1(VALU_DEP_3)
	v_add_co_ci_u32_e64 v16, s0, 0, v5, s0
	v_sub_co_u32 v17, s0, v2, s14
	v_sub_co_ci_u32_e32 v3, vcc_lo, 0, v3, vcc_lo
	v_subrev_co_ci_u32_e64 v6, s0, 0, v6, s0
	v_cmp_le_u32_e32 vcc_lo, s14, v17
	s_delay_alu instid0(VALU_DEP_3) | instskip(SKIP_1) | instid1(VALU_DEP_4)
	v_cmp_eq_u32_e64 s0, s15, v3
	v_cndmask_b32_e64 v17, 0, -1, vcc_lo
	v_cmp_le_u32_e32 vcc_lo, s15, v6
	v_cndmask_b32_e64 v18, 0, -1, vcc_lo
	v_cmp_le_u32_e32 vcc_lo, s14, v2
	v_cndmask_b32_e64 v2, 0, -1, vcc_lo
	v_cmp_le_u32_e32 vcc_lo, s15, v3
	v_cndmask_b32_e64 v19, 0, -1, vcc_lo
	v_cmp_eq_u32_e32 vcc_lo, s15, v6
	s_delay_alu instid0(VALU_DEP_2) | instskip(SKIP_3) | instid1(VALU_DEP_3)
	v_cndmask_b32_e64 v2, v19, v2, s0
	v_cndmask_b32_e32 v6, v18, v17, vcc_lo
	v_add_co_u32 v17, vcc_lo, v4, 1
	v_add_co_ci_u32_e32 v18, vcc_lo, 0, v5, vcc_lo
	v_cmp_ne_u32_e32 vcc_lo, 0, v6
	s_delay_alu instid0(VALU_DEP_2) | instskip(SKIP_1) | instid1(VALU_DEP_2)
	v_dual_cndmask_b32 v3, v18, v16 :: v_dual_cndmask_b32 v6, v17, v7
	v_cmp_ne_u32_e32 vcc_lo, 0, v2
	v_dual_cndmask_b32 v2, v5, v3 :: v_dual_cndmask_b32 v3, v4, v6
	s_delay_alu instid0(VALU_DEP_1) | instskip(NEXT) | instid1(VALU_DEP_2)
	v_xor_b32_e32 v4, s10, v2
	v_xor_b32_e32 v3, s10, v3
	s_delay_alu instid0(VALU_DEP_1) | instskip(NEXT) | instid1(VALU_DEP_3)
	v_sub_co_u32 v2, vcc_lo, v3, s10
	v_subrev_co_ci_u32_e32 v3, vcc_lo, s10, v4, vcc_lo
	s_cbranch_execnz .LBB4_42
.LBB4_41:                               ;   in Loop: Header=BB4_39 Depth=1
	s_delay_alu instid0(VALU_DEP_1) | instskip(NEXT) | instid1(VALU_DEP_1)
	v_mul_hi_u32 v2, v0, v13
	v_mul_lo_u32 v3, v2, s18
	s_delay_alu instid0(VALU_DEP_1) | instskip(NEXT) | instid1(VALU_DEP_1)
	v_sub_nc_u32_e32 v3, v0, v3
	v_subrev_nc_u32_e32 v5, s18, v3
	v_cmp_le_u32_e32 vcc_lo, s18, v3
	s_delay_alu instid0(VALU_DEP_2) | instskip(NEXT) | instid1(VALU_DEP_1)
	v_dual_cndmask_b32 v3, v3, v5 :: v_dual_add_nc_u32 v4, 1, v2
	v_cndmask_b32_e32 v2, v2, v4, vcc_lo
	s_delay_alu instid0(VALU_DEP_2) | instskip(NEXT) | instid1(VALU_DEP_2)
	v_cmp_le_u32_e32 vcc_lo, s18, v3
	v_dual_mov_b32 v3, v1 :: v_dual_add_nc_u32 v4, 1, v2
	s_delay_alu instid0(VALU_DEP_1)
	v_cndmask_b32_e32 v2, v2, v4, vcc_lo
.LBB4_42:                               ;   in Loop: Header=BB4_39 Depth=1
	s_delay_alu instid0(VALU_DEP_1) | instskip(NEXT) | instid1(VALU_DEP_1)
	v_dual_mov_b32 v4, v1 :: v_dual_mov_b32 v5, v3
	v_cmp_ne_u64_e32 vcc_lo, 0, v[4:5]
                                        ; implicit-def: $vgpr4_vgpr5
	s_and_saveexec_b32 s0, vcc_lo
	s_delay_alu instid0(SALU_CYCLE_1)
	s_xor_b32 s0, exec_lo, s0
	s_cbranch_execz .LBB4_44
; %bb.43:                               ;   in Loop: Header=BB4_39 Depth=1
	s_sub_u32 s11, 0, s13
	s_subb_u32 s14, 0, 0
	v_mul_hi_u32 v4, s11, v12
	v_mul_lo_u32 v5, s11, v11
	v_mul_lo_u32 v6, s14, v12
	v_ashrrev_i32_e32 v19, 31, v3
	s_delay_alu instid0(VALU_DEP_3) | instskip(SKIP_1) | instid1(VALU_DEP_2)
	v_add_nc_u32_e32 v4, v4, v5
	v_mul_lo_u32 v5, s11, v12
	v_add_nc_u32_e32 v4, v4, v6
	s_delay_alu instid0(VALU_DEP_2) | instskip(NEXT) | instid1(VALU_DEP_2)
	v_mul_hi_u32 v6, v12, v5
	v_mul_lo_u32 v7, v12, v4
	v_mul_hi_u32 v16, v12, v4
	v_mul_hi_u32 v17, v11, v5
	v_mul_lo_u32 v5, v11, v5
	v_mul_hi_u32 v18, v11, v4
	v_mul_lo_u32 v4, v11, v4
	v_add_co_u32 v6, vcc_lo, v6, v7
	v_add_co_ci_u32_e32 v7, vcc_lo, 0, v16, vcc_lo
	s_delay_alu instid0(VALU_DEP_2) | instskip(NEXT) | instid1(VALU_DEP_2)
	v_add_co_u32 v5, vcc_lo, v6, v5
	v_add_co_ci_u32_e32 v5, vcc_lo, v7, v17, vcc_lo
	v_add_co_ci_u32_e32 v6, vcc_lo, 0, v18, vcc_lo
	s_delay_alu instid0(VALU_DEP_2) | instskip(NEXT) | instid1(VALU_DEP_2)
	v_add_co_u32 v4, vcc_lo, v5, v4
	v_add_co_ci_u32_e32 v5, vcc_lo, 0, v6, vcc_lo
	s_delay_alu instid0(VALU_DEP_2) | instskip(NEXT) | instid1(VALU_DEP_2)
	v_add_co_u32 v4, vcc_lo, v12, v4
	v_add_co_ci_u32_e32 v5, vcc_lo, v11, v5, vcc_lo
	s_delay_alu instid0(VALU_DEP_2) | instskip(SKIP_1) | instid1(VALU_DEP_3)
	v_mul_hi_u32 v6, s11, v4
	v_mul_lo_u32 v16, s14, v4
	v_mul_lo_u32 v7, s11, v5
	s_delay_alu instid0(VALU_DEP_1) | instskip(SKIP_1) | instid1(VALU_DEP_2)
	v_add_nc_u32_e32 v6, v6, v7
	v_mul_lo_u32 v7, s11, v4
	v_add_nc_u32_e32 v6, v6, v16
	s_delay_alu instid0(VALU_DEP_2) | instskip(NEXT) | instid1(VALU_DEP_2)
	v_mul_hi_u32 v16, v4, v7
	v_mul_lo_u32 v17, v4, v6
	v_mul_hi_u32 v18, v4, v6
	v_mul_hi_u32 v20, v5, v7
	v_mul_lo_u32 v7, v5, v7
	v_mul_hi_u32 v21, v5, v6
	v_mul_lo_u32 v6, v5, v6
	v_add_co_u32 v16, vcc_lo, v16, v17
	v_add_co_ci_u32_e32 v17, vcc_lo, 0, v18, vcc_lo
	s_delay_alu instid0(VALU_DEP_2) | instskip(NEXT) | instid1(VALU_DEP_2)
	v_add_co_u32 v7, vcc_lo, v16, v7
	v_add_co_ci_u32_e32 v7, vcc_lo, v17, v20, vcc_lo
	v_add_co_ci_u32_e32 v16, vcc_lo, 0, v21, vcc_lo
	v_add_co_u32 v2, vcc_lo, v2, v19
	v_add_co_ci_u32_e32 v3, vcc_lo, v3, v19, vcc_lo
	s_delay_alu instid0(VALU_DEP_4) | instskip(NEXT) | instid1(VALU_DEP_4)
	v_add_co_u32 v6, vcc_lo, v7, v6
	v_add_co_ci_u32_e32 v7, vcc_lo, 0, v16, vcc_lo
	s_delay_alu instid0(VALU_DEP_4) | instskip(NEXT) | instid1(VALU_DEP_3)
	v_xor_b32_e32 v16, v2, v19
	v_add_co_u32 v6, vcc_lo, v4, v6
	s_delay_alu instid0(VALU_DEP_3) | instskip(SKIP_1) | instid1(VALU_DEP_3)
	v_add_co_ci_u32_e32 v17, vcc_lo, v5, v7, vcc_lo
	v_xor_b32_e32 v18, v3, v19
	v_mul_hi_u32 v20, v16, v6
	s_delay_alu instid0(VALU_DEP_3) | instskip(NEXT) | instid1(VALU_DEP_3)
	v_mad_u64_u32 v[2:3], null, v16, v17, 0
	v_mad_u64_u32 v[4:5], null, v18, v6, 0
	;; [unrolled: 1-line block ×3, first 2 shown]
	s_delay_alu instid0(VALU_DEP_3) | instskip(NEXT) | instid1(VALU_DEP_4)
	v_add_co_u32 v2, vcc_lo, v20, v2
	v_add_co_ci_u32_e32 v3, vcc_lo, 0, v3, vcc_lo
	s_delay_alu instid0(VALU_DEP_2) | instskip(NEXT) | instid1(VALU_DEP_2)
	v_add_co_u32 v2, vcc_lo, v2, v4
	v_add_co_ci_u32_e32 v2, vcc_lo, v3, v5, vcc_lo
	v_add_co_ci_u32_e32 v3, vcc_lo, 0, v7, vcc_lo
	s_delay_alu instid0(VALU_DEP_2) | instskip(NEXT) | instid1(VALU_DEP_2)
	v_add_co_u32 v4, vcc_lo, v2, v6
	v_add_co_ci_u32_e32 v6, vcc_lo, 0, v3, vcc_lo
	s_delay_alu instid0(VALU_DEP_2) | instskip(NEXT) | instid1(VALU_DEP_1)
	v_mad_u64_u32 v[2:3], null, s13, v4, 0
	v_mad_u64_u32 v[4:5], null, s13, v6, v[3:4]
	s_delay_alu instid0(VALU_DEP_2) | instskip(NEXT) | instid1(VALU_DEP_2)
	v_sub_co_u32 v2, vcc_lo, v16, v2
	v_sub_co_ci_u32_e32 v3, vcc_lo, v18, v4, vcc_lo
	s_delay_alu instid0(VALU_DEP_2) | instskip(NEXT) | instid1(VALU_DEP_2)
	v_sub_co_u32 v4, vcc_lo, v2, s13
	v_subrev_co_ci_u32_e32 v5, vcc_lo, 0, v3, vcc_lo
	s_delay_alu instid0(VALU_DEP_2) | instskip(SKIP_4) | instid1(VALU_DEP_4)
	v_cmp_le_u32_e32 vcc_lo, s13, v4
	v_cndmask_b32_e64 v6, 0, -1, vcc_lo
	v_cmp_le_u32_e32 vcc_lo, s13, v2
	v_cndmask_b32_e64 v7, 0, -1, vcc_lo
	v_cmp_eq_u32_e32 vcc_lo, 0, v5
	v_cndmask_b32_e32 v5, -1, v6, vcc_lo
	v_sub_co_u32 v6, vcc_lo, v4, s13
	v_cmp_eq_u32_e32 vcc_lo, 0, v3
	v_cndmask_b32_e32 v3, -1, v7, vcc_lo
	s_delay_alu instid0(VALU_DEP_4) | instskip(NEXT) | instid1(VALU_DEP_4)
	v_cmp_ne_u32_e32 vcc_lo, 0, v5
	v_cndmask_b32_e32 v4, v4, v6, vcc_lo
	s_delay_alu instid0(VALU_DEP_3) | instskip(NEXT) | instid1(VALU_DEP_2)
	v_cmp_ne_u32_e32 vcc_lo, 0, v3
	v_cndmask_b32_e32 v2, v2, v4, vcc_lo
	s_delay_alu instid0(VALU_DEP_1) | instskip(NEXT) | instid1(VALU_DEP_1)
	v_xor_b32_e32 v2, v2, v19
	v_sub_co_u32 v4, vcc_lo, v2, v19
                                        ; implicit-def: $vgpr2_vgpr3
.LBB4_44:                               ;   in Loop: Header=BB4_39 Depth=1
	s_and_not1_saveexec_b32 s0, s0
	s_cbranch_execz .LBB4_46
; %bb.45:                               ;   in Loop: Header=BB4_39 Depth=1
	v_cvt_f32_u32_e32 v3, s13
	s_delay_alu instid0(VALU_DEP_1) | instskip(SKIP_2) | instid1(VALU_DEP_1)
	v_rcp_iflag_f32_e32 v3, v3
	s_waitcnt_depctr 0xfff
	v_mul_f32_e32 v3, 0x4f7ffffe, v3
	v_cvt_u32_f32_e32 v3, v3
	s_delay_alu instid0(VALU_DEP_1) | instskip(NEXT) | instid1(VALU_DEP_1)
	v_mul_lo_u32 v4, s21, v3
	v_mul_hi_u32 v4, v3, v4
	s_delay_alu instid0(VALU_DEP_1) | instskip(NEXT) | instid1(VALU_DEP_1)
	v_add_nc_u32_e32 v3, v3, v4
	v_mul_hi_u32 v3, v2, v3
	s_delay_alu instid0(VALU_DEP_1) | instskip(NEXT) | instid1(VALU_DEP_1)
	v_mul_lo_u32 v3, v3, s13
	v_sub_nc_u32_e32 v2, v2, v3
	s_delay_alu instid0(VALU_DEP_1) | instskip(SKIP_1) | instid1(VALU_DEP_2)
	v_subrev_nc_u32_e32 v3, s13, v2
	v_cmp_le_u32_e32 vcc_lo, s13, v2
	v_cndmask_b32_e32 v2, v2, v3, vcc_lo
	s_delay_alu instid0(VALU_DEP_1) | instskip(SKIP_1) | instid1(VALU_DEP_2)
	v_subrev_nc_u32_e32 v3, s13, v2
	v_cmp_le_u32_e32 vcc_lo, s13, v2
	v_cndmask_b32_e32 v4, v2, v3, vcc_lo
.LBB4_46:                               ;   in Loop: Header=BB4_39 Depth=1
	s_or_b32 exec_lo, exec_lo, s0
	v_lshlrev_b64 v[2:3], 1, v[0:1]
	s_delay_alu instid0(VALU_DEP_1) | instskip(NEXT) | instid1(VALU_DEP_2)
	v_add_co_u32 v5, vcc_lo, s4, v2
	v_add_co_ci_u32_e32 v6, vcc_lo, s5, v3, vcc_lo
	s_and_not1_b32 vcc_lo, exec_lo, s1
	global_load_b64 v[6:7], v[5:6], off
	s_cbranch_vccnz .LBB4_48
; %bb.47:                               ;   in Loop: Header=BB4_39 Depth=1
	v_mov_b32_e32 v5, v1
	s_delay_alu instid0(VALU_DEP_1) | instskip(NEXT) | instid1(VALU_DEP_1)
	v_lshlrev_b64 v[16:17], 1, v[4:5]
	v_add_co_u32 v16, vcc_lo, s6, v16
	s_delay_alu instid0(VALU_DEP_2)
	v_add_co_ci_u32_e32 v17, vcc_lo, s7, v17, vcc_lo
	global_load_u16 v0, v[16:17], off
	s_waitcnt vmcnt(0)
	v_cvt_f32_f16_e32 v14, v0
.LBB4_48:                               ;   in Loop: Header=BB4_39 Depth=1
	s_and_not1_b32 vcc_lo, exec_lo, s16
	s_cbranch_vccnz .LBB4_38
; %bb.49:                               ;   in Loop: Header=BB4_39 Depth=1
	v_mov_b32_e32 v5, v1
	s_delay_alu instid0(VALU_DEP_1) | instskip(NEXT) | instid1(VALU_DEP_1)
	v_lshlrev_b64 v[4:5], 1, v[4:5]
	v_add_co_u32 v4, vcc_lo, s8, v4
	s_delay_alu instid0(VALU_DEP_2)
	v_add_co_ci_u32_e32 v5, vcc_lo, s9, v5, vcc_lo
	global_load_u16 v0, v[4:5], off
	s_waitcnt vmcnt(0)
	v_cvt_f32_f16_e32 v15, v0
	s_branch .LBB4_38
.LBB4_50:                               ;   in Loop: Header=BB4_39 Depth=1
                                        ; implicit-def: $vgpr2_vgpr3
	s_branch .LBB4_41
.LBB4_51:
	s_nop 0
	s_sendmsg sendmsg(MSG_DEALLOC_VGPRS)
	s_endpgm
.LBB4_52:
                                        ; implicit-def: $sgpr12_sgpr13
	s_branch .LBB4_2
	.section	.rodata,"a",@progbits
	.p2align	6, 0x0
	.amdhsa_kernel _ZN12_GLOBAL__N_130groupnorm_kernel_dispatch_downI6__halfLj1024EEEvjjlfbPKT_S4_S4_PKfS6_PS2_
		.amdhsa_group_segment_fixed_size 256
		.amdhsa_private_segment_fixed_size 0
		.amdhsa_kernarg_size 328
		.amdhsa_user_sgpr_count 14
		.amdhsa_user_sgpr_dispatch_ptr 0
		.amdhsa_user_sgpr_queue_ptr 0
		.amdhsa_user_sgpr_kernarg_segment_ptr 1
		.amdhsa_user_sgpr_dispatch_id 0
		.amdhsa_user_sgpr_private_segment_size 0
		.amdhsa_wavefront_size32 1
		.amdhsa_uses_dynamic_stack 0
		.amdhsa_enable_private_segment 0
		.amdhsa_system_sgpr_workgroup_id_x 1
		.amdhsa_system_sgpr_workgroup_id_y 1
		.amdhsa_system_sgpr_workgroup_id_z 0
		.amdhsa_system_sgpr_workgroup_info 0
		.amdhsa_system_vgpr_workitem_id 0
		.amdhsa_next_free_vgpr 22
		.amdhsa_next_free_sgpr 28
		.amdhsa_reserve_vcc 1
		.amdhsa_float_round_mode_32 0
		.amdhsa_float_round_mode_16_64 0
		.amdhsa_float_denorm_mode_32 3
		.amdhsa_float_denorm_mode_16_64 3
		.amdhsa_dx10_clamp 1
		.amdhsa_ieee_mode 1
		.amdhsa_fp16_overflow 0
		.amdhsa_workgroup_processor_mode 1
		.amdhsa_memory_ordered 1
		.amdhsa_forward_progress 0
		.amdhsa_shared_vgpr_count 0
		.amdhsa_exception_fp_ieee_invalid_op 0
		.amdhsa_exception_fp_denorm_src 0
		.amdhsa_exception_fp_ieee_div_zero 0
		.amdhsa_exception_fp_ieee_overflow 0
		.amdhsa_exception_fp_ieee_underflow 0
		.amdhsa_exception_fp_ieee_inexact 0
		.amdhsa_exception_int_div_zero 0
	.end_amdhsa_kernel
	.section	.text._ZN12_GLOBAL__N_130groupnorm_kernel_dispatch_downI6__halfLj1024EEEvjjlfbPKT_S4_S4_PKfS6_PS2_,"axG",@progbits,_ZN12_GLOBAL__N_130groupnorm_kernel_dispatch_downI6__halfLj1024EEEvjjlfbPKT_S4_S4_PKfS6_PS2_,comdat
.Lfunc_end4:
	.size	_ZN12_GLOBAL__N_130groupnorm_kernel_dispatch_downI6__halfLj1024EEEvjjlfbPKT_S4_S4_PKfS6_PS2_, .Lfunc_end4-_ZN12_GLOBAL__N_130groupnorm_kernel_dispatch_downI6__halfLj1024EEEvjjlfbPKT_S4_S4_PKfS6_PS2_
                                        ; -- End function
	.section	.AMDGPU.csdata,"",@progbits
; Kernel info:
; codeLenInByte = 6252
; NumSgprs: 30
; NumVgprs: 22
; ScratchSize: 0
; MemoryBound: 0
; FloatMode: 240
; IeeeMode: 1
; LDSByteSize: 256 bytes/workgroup (compile time only)
; SGPRBlocks: 3
; VGPRBlocks: 2
; NumSGPRsForWavesPerEU: 30
; NumVGPRsForWavesPerEU: 22
; Occupancy: 16
; WaveLimiterHint : 0
; COMPUTE_PGM_RSRC2:SCRATCH_EN: 0
; COMPUTE_PGM_RSRC2:USER_SGPR: 14
; COMPUTE_PGM_RSRC2:TRAP_HANDLER: 0
; COMPUTE_PGM_RSRC2:TGID_X_EN: 1
; COMPUTE_PGM_RSRC2:TGID_Y_EN: 1
; COMPUTE_PGM_RSRC2:TGID_Z_EN: 0
; COMPUTE_PGM_RSRC2:TIDIG_COMP_CNT: 0
	.section	.text._ZN12_GLOBAL__N_128groupnorm_kernel_dispatch_upI14__hip_bfloat16Lj1024EEEvjjlbPKT_PfS5_,"axG",@progbits,_ZN12_GLOBAL__N_128groupnorm_kernel_dispatch_upI14__hip_bfloat16Lj1024EEEvjjlbPKT_PfS5_,comdat
	.globl	_ZN12_GLOBAL__N_128groupnorm_kernel_dispatch_upI14__hip_bfloat16Lj1024EEEvjjlbPKT_PfS5_ ; -- Begin function _ZN12_GLOBAL__N_128groupnorm_kernel_dispatch_upI14__hip_bfloat16Lj1024EEEvjjlbPKT_PfS5_
	.p2align	8
	.type	_ZN12_GLOBAL__N_128groupnorm_kernel_dispatch_upI14__hip_bfloat16Lj1024EEEvjjlbPKT_PfS5_,@function
_ZN12_GLOBAL__N_128groupnorm_kernel_dispatch_upI14__hip_bfloat16Lj1024EEEvjjlbPKT_PfS5_: ; @_ZN12_GLOBAL__N_128groupnorm_kernel_dispatch_upI14__hip_bfloat16Lj1024EEEvjjlbPKT_PfS5_
; %bb.0:
	s_load_b32 s12, s[0:1], 0x30
	s_add_u32 s2, s0, 48
	s_addc_u32 s3, s1, 0
	v_mov_b32_e32 v1, 0
	s_mov_b32 s10, 0
	s_waitcnt lgkmcnt(0)
	s_cmp_lt_u32 s14, s12
	s_cselect_b32 s4, 12, 18
	s_delay_alu instid0(SALU_CYCLE_1)
	s_add_u32 s4, s2, s4
	s_addc_u32 s5, s3, 0
	global_load_u16 v1, v1, s[4:5]
	s_load_b128 s[4:7], s[0:1], 0x0
	s_waitcnt lgkmcnt(0)
	s_mul_i32 s7, s5, s7
	s_mul_hi_u32 s8, s5, s6
	s_mul_i32 s5, s5, s6
	s_add_i32 s11, s8, s7
	s_delay_alu instid0(SALU_CYCLE_1)
	s_cmp_lg_u64 s[10:11], 0
	s_cbranch_scc0 .LBB5_26
; %bb.1:
	v_cvt_f32_ubyte0_e32 v2, 0
	v_cvt_f32_u32_e32 v3, s4
	s_sub_u32 s8, 0, s4
	s_subb_u32 s9, 0, 0
	s_delay_alu instid0(VALU_DEP_1) | instskip(NEXT) | instid1(VALU_DEP_1)
	v_fmamk_f32 v2, v2, 0x4f800000, v3
	v_rcp_f32_e32 v2, v2
	s_waitcnt_depctr 0xfff
	v_mul_f32_e32 v2, 0x5f7ffffc, v2
	s_delay_alu instid0(VALU_DEP_1) | instskip(NEXT) | instid1(VALU_DEP_1)
	v_mul_f32_e32 v3, 0x2f800000, v2
	v_trunc_f32_e32 v3, v3
	s_delay_alu instid0(VALU_DEP_1) | instskip(SKIP_1) | instid1(VALU_DEP_2)
	v_fmamk_f32 v2, v3, 0xcf800000, v2
	v_cvt_u32_f32_e32 v3, v3
	v_cvt_u32_f32_e32 v2, v2
	s_delay_alu instid0(VALU_DEP_2) | instskip(NEXT) | instid1(VALU_DEP_2)
	v_readfirstlane_b32 s6, v3
	v_readfirstlane_b32 s7, v2
	s_delay_alu instid0(VALU_DEP_2) | instskip(NEXT) | instid1(VALU_DEP_1)
	s_mul_i32 s13, s8, s6
	s_mul_hi_u32 s17, s8, s7
	s_mul_i32 s16, s9, s7
	s_add_i32 s13, s17, s13
	s_mul_i32 s18, s8, s7
	s_add_i32 s13, s13, s16
	s_mul_hi_u32 s17, s7, s18
	s_mul_hi_u32 s19, s6, s18
	s_mul_i32 s16, s6, s18
	s_mul_hi_u32 s18, s7, s13
	s_mul_i32 s7, s7, s13
	s_mul_hi_u32 s20, s6, s13
	s_add_u32 s7, s17, s7
	s_addc_u32 s17, 0, s18
	s_add_u32 s7, s7, s16
	s_mul_i32 s13, s6, s13
	s_addc_u32 s7, s17, s19
	s_addc_u32 s16, s20, 0
	s_add_u32 s7, s7, s13
	s_addc_u32 s13, 0, s16
	v_add_co_u32 v2, s7, v2, s7
	s_delay_alu instid0(VALU_DEP_1) | instskip(SKIP_1) | instid1(VALU_DEP_1)
	s_cmp_lg_u32 s7, 0
	s_addc_u32 s6, s6, s13
	v_readfirstlane_b32 s7, v2
	s_mul_i32 s13, s8, s6
	s_delay_alu instid0(VALU_DEP_1)
	s_mul_hi_u32 s16, s8, s7
	s_mul_i32 s9, s9, s7
	s_add_i32 s13, s16, s13
	s_mul_i32 s8, s8, s7
	s_add_i32 s13, s13, s9
	s_mul_hi_u32 s16, s6, s8
	s_mul_i32 s17, s6, s8
	s_mul_hi_u32 s8, s7, s8
	s_mul_hi_u32 s18, s7, s13
	s_mul_i32 s7, s7, s13
	s_mul_hi_u32 s9, s6, s13
	s_add_u32 s7, s8, s7
	s_addc_u32 s8, 0, s18
	s_add_u32 s7, s7, s17
	s_mul_i32 s13, s6, s13
	s_addc_u32 s7, s8, s16
	s_addc_u32 s8, s9, 0
	s_add_u32 s7, s7, s13
	s_addc_u32 s8, 0, s8
	v_add_co_u32 v2, s7, v2, s7
	s_delay_alu instid0(VALU_DEP_1) | instskip(SKIP_2) | instid1(SALU_CYCLE_1)
	s_cmp_lg_u32 s7, 0
	s_addc_u32 s13, s6, s8
	s_ashr_i32 s6, s11, 31
	s_add_u32 s8, s5, s6
	s_addc_u32 s9, s11, s6
	v_readfirstlane_b32 s11, v2
	s_mov_b32 s7, s6
	s_delay_alu instid0(SALU_CYCLE_1) | instskip(NEXT) | instid1(SALU_CYCLE_1)
	s_xor_b64 s[8:9], s[8:9], s[6:7]
	s_mul_i32 s17, s8, s13
	s_delay_alu instid0(VALU_DEP_1)
	s_mul_hi_u32 s18, s8, s11
	s_mul_hi_u32 s16, s8, s13
	s_mul_hi_u32 s20, s9, s11
	s_mul_i32 s11, s9, s11
	s_add_u32 s17, s18, s17
	s_addc_u32 s16, 0, s16
	s_mul_hi_u32 s19, s9, s13
	s_add_u32 s11, s17, s11
	s_mul_i32 s13, s9, s13
	s_addc_u32 s11, s16, s20
	s_addc_u32 s16, s19, 0
	s_add_u32 s11, s11, s13
	s_addc_u32 s13, 0, s16
	s_mul_i32 s17, s4, s11
	s_add_u32 s16, s11, 1
	v_sub_co_u32 v2, s8, s8, s17
	s_mul_hi_u32 s17, s4, s11
	s_addc_u32 s18, s13, 0
	s_mul_i32 s19, s4, s13
	s_delay_alu instid0(VALU_DEP_1)
	v_sub_co_u32 v3, s20, v2, s4
	s_add_u32 s21, s11, 2
	s_addc_u32 s22, s13, 0
	s_add_i32 s17, s17, s19
	s_cmp_lg_u32 s8, 0
	v_readfirstlane_b32 s8, v3
	s_subb_u32 s9, s9, s17
	s_cmp_lg_u32 s20, 0
	s_subb_u32 s17, s9, 0
	s_delay_alu instid0(VALU_DEP_1) | instskip(SKIP_4) | instid1(SALU_CYCLE_1)
	s_cmp_ge_u32 s8, s4
	s_cselect_b32 s8, -1, 0
	s_cmp_eq_u32 s17, 0
	v_readfirstlane_b32 s17, v2
	s_cselect_b32 s8, s8, -1
	s_cmp_lg_u32 s8, 0
	s_cselect_b32 s8, s21, s16
	s_cselect_b32 s16, s22, s18
	s_cmp_ge_u32 s17, s4
	s_cselect_b32 s17, -1, 0
	s_cmp_eq_u32 s9, 0
	s_cselect_b32 s9, s17, -1
	s_delay_alu instid0(SALU_CYCLE_1) | instskip(SKIP_2) | instid1(SALU_CYCLE_1)
	s_cmp_lg_u32 s9, 0
	s_cselect_b32 s9, s16, s13
	s_cselect_b32 s8, s8, s11
	s_xor_b64 s[8:9], s[8:9], s[6:7]
	s_delay_alu instid0(SALU_CYCLE_1)
	s_sub_u32 s8, s8, s6
	s_and_not1_b32 vcc_lo, exec_lo, s10
	s_cbranch_vccnz .LBB5_3
.LBB5_2:
	v_cvt_f32_u32_e32 v2, s4
	s_sub_i32 s7, 0, s4
	s_delay_alu instid0(VALU_DEP_1) | instskip(SKIP_2) | instid1(VALU_DEP_1)
	v_rcp_iflag_f32_e32 v2, v2
	s_waitcnt_depctr 0xfff
	v_mul_f32_e32 v2, 0x4f7ffffe, v2
	v_cvt_u32_f32_e32 v2, v2
	s_delay_alu instid0(VALU_DEP_1) | instskip(NEXT) | instid1(VALU_DEP_1)
	v_readfirstlane_b32 s6, v2
	s_mul_i32 s7, s7, s6
	s_delay_alu instid0(SALU_CYCLE_1) | instskip(NEXT) | instid1(SALU_CYCLE_1)
	s_mul_hi_u32 s7, s6, s7
	s_add_i32 s6, s6, s7
	s_delay_alu instid0(SALU_CYCLE_1) | instskip(NEXT) | instid1(SALU_CYCLE_1)
	s_mul_hi_u32 s6, s5, s6
	s_mul_i32 s7, s6, s4
	s_delay_alu instid0(SALU_CYCLE_1)
	s_sub_i32 s5, s5, s7
	s_add_i32 s7, s6, 1
	s_sub_i32 s8, s5, s4
	s_cmp_ge_u32 s5, s4
	s_cselect_b32 s6, s7, s6
	s_cselect_b32 s5, s8, s5
	s_add_i32 s7, s6, 1
	s_cmp_ge_u32 s5, s4
	s_cselect_b32 s8, s7, s6
.LBB5_3:
	s_clause 0x1
	s_load_b32 s9, s[0:1], 0x10
	s_load_b128 s[4:7], s[0:1], 0x18
	s_waitcnt vmcnt(0)
	v_and_b32_e32 v3, 0xffff, v1
	s_delay_alu instid0(VALU_DEP_1) | instskip(SKIP_3) | instid1(SALU_CYCLE_1)
	v_mad_u64_u32 v[1:2], null, s14, v3, v[0:1]
	s_waitcnt lgkmcnt(0)
	s_bitcmp1_b32 s9, 0
	s_cselect_b32 s9, -1, 0
	s_and_b32 vcc_lo, exec_lo, s9
	s_cbranch_vccnz .LBB5_9
; %bb.4:
	v_dual_mov_b32 v5, 0 :: v_dual_mov_b32 v4, 0
	s_mov_b32 s9, 0
	s_mov_b32 s10, exec_lo
	v_cmpx_gt_u32_e64 s8, v1
	s_cbranch_execz .LBB5_8
; %bb.5:
	s_load_b32 s11, s[2:3], 0x10
	v_dual_mov_b32 v5, 0 :: v_dual_mov_b32 v4, 0
	v_dual_mov_b32 v3, 0 :: v_dual_mov_b32 v6, v1
	s_waitcnt lgkmcnt(0)
	s_lshr_b32 s13, s11, 16
	s_mul_i32 s11, s15, s8
	s_cmp_lg_u32 s13, 0
	s_cselect_b32 s13, -1, 0
	s_delay_alu instid0(SALU_CYCLE_1) | instskip(SKIP_2) | instid1(SALU_CYCLE_1)
	s_cmp_lg_u32 s13, 0
	s_mov_b32 s13, 0
	s_addc_u32 s16, s12, 0
	s_lshl_b32 s16, s16, 10
.LBB5_6:                                ; =>This Inner Loop Header: Depth=1
	v_add_nc_u32_e32 v2, s11, v6
	v_add_nc_u32_e32 v6, s16, v6
	s_delay_alu instid0(VALU_DEP_2) | instskip(NEXT) | instid1(VALU_DEP_1)
	v_lshlrev_b64 v[7:8], 1, v[2:3]
	v_add_co_u32 v7, vcc_lo, s4, v7
	s_delay_alu instid0(VALU_DEP_2) | instskip(NEXT) | instid1(VALU_DEP_4)
	v_add_co_ci_u32_e32 v8, vcc_lo, s5, v8, vcc_lo
	v_cmp_le_u32_e32 vcc_lo, s8, v6
	global_load_u16 v2, v[7:8], off
	s_or_b32 s13, vcc_lo, s13
	s_waitcnt vmcnt(0)
	v_lshlrev_b32_e32 v2, 16, v2
	s_delay_alu instid0(VALU_DEP_1)
	v_add_f32_e32 v5, v5, v2
	v_fmac_f32_e32 v4, v2, v2
	s_and_not1_b32 exec_lo, exec_lo, s13
	s_cbranch_execnz .LBB5_6
; %bb.7:
	s_or_b32 exec_lo, exec_lo, s13
.LBB5_8:
	s_delay_alu instid0(SALU_CYCLE_1) | instskip(NEXT) | instid1(SALU_CYCLE_1)
	s_or_b32 exec_lo, exec_lo, s10
	s_and_not1_b32 vcc_lo, exec_lo, s9
	s_cbranch_vccz .LBB5_10
	s_branch .LBB5_15
.LBB5_9:
                                        ; implicit-def: $vgpr5
                                        ; implicit-def: $vgpr4
.LBB5_10:
	s_delay_alu instid0(VALU_DEP_1) | instskip(SKIP_3) | instid1(VALU_DEP_2)
	v_dual_mov_b32 v4, 0 :: v_dual_lshlrev_b32 v3, 2, v1
	v_mov_b32_e32 v5, 0
	s_mov_b32 s10, 0
	s_mov_b32 s9, exec_lo
	v_cmpx_gt_u32_e64 s8, v3
	s_cbranch_execz .LBB5_14
; %bb.11:
	s_load_b32 s2, s[2:3], 0x10
	v_dual_mov_b32 v5, 0 :: v_dual_mov_b32 v2, 0
	v_mov_b32_e32 v4, 0
	s_waitcnt lgkmcnt(0)
	s_lshr_b32 s2, s2, 16
	s_delay_alu instid0(SALU_CYCLE_1) | instskip(SKIP_1) | instid1(SALU_CYCLE_1)
	s_cmp_lg_u32 s2, 0
	s_cselect_b32 s2, -1, 0
	s_cmp_lg_u32 s2, 0
	s_mul_i32 s2, s15, s8
	s_addc_u32 s3, s12, 0
	s_delay_alu instid0(SALU_CYCLE_1)
	s_lshl_b32 s3, s3, 12
	.p2align	6
.LBB5_12:                               ; =>This Inner Loop Header: Depth=1
	v_add_nc_u32_e32 v1, s2, v3
	s_delay_alu instid0(VALU_DEP_1) | instskip(NEXT) | instid1(VALU_DEP_1)
	v_lshlrev_b64 v[6:7], 1, v[1:2]
	v_add_co_u32 v6, vcc_lo, s4, v6
	s_delay_alu instid0(VALU_DEP_2)
	v_add_co_ci_u32_e32 v7, vcc_lo, s5, v7, vcc_lo
	global_load_b64 v[6:7], v[6:7], off
	s_waitcnt vmcnt(0)
	v_lshlrev_b32_e32 v1, 16, v6
	v_and_b32_e32 v8, 0xffff0000, v6
	v_alignbit_b32 v6, v7, v6, 16
	s_delay_alu instid0(VALU_DEP_3) | instskip(NEXT) | instid1(VALU_DEP_2)
	v_add_f32_e32 v5, v5, v1
	v_dual_fmac_f32 v4, v1, v1 :: v_dual_and_b32 v1, 0xffff0000, v6
	s_delay_alu instid0(VALU_DEP_2) | instskip(NEXT) | instid1(VALU_DEP_2)
	v_dual_add_f32 v5, v5, v8 :: v_dual_and_b32 v6, 0xffff0000, v7
	v_dual_fmac_f32 v4, v8, v8 :: v_dual_add_nc_u32 v3, s3, v3
	s_delay_alu instid0(VALU_DEP_1) | instskip(NEXT) | instid1(VALU_DEP_3)
	v_fmac_f32_e32 v4, v1, v1
	v_add_f32_e32 v5, v5, v1
	s_delay_alu instid0(VALU_DEP_3) | instskip(NEXT) | instid1(VALU_DEP_3)
	v_cmp_le_u32_e32 vcc_lo, s8, v3
	v_fmac_f32_e32 v4, v6, v6
	s_delay_alu instid0(VALU_DEP_3) | instskip(SKIP_1) | instid1(SALU_CYCLE_1)
	v_add_f32_e32 v5, v5, v6
	s_or_b32 s10, vcc_lo, s10
	s_and_not1_b32 exec_lo, exec_lo, s10
	s_cbranch_execnz .LBB5_12
; %bb.13:
	s_or_b32 exec_lo, exec_lo, s10
.LBB5_14:
	s_delay_alu instid0(SALU_CYCLE_1)
	s_or_b32 exec_lo, exec_lo, s9
.LBB5_15:
	v_mbcnt_lo_u32_b32 v6, -1, 0
	s_mov_b32 s2, exec_lo
	s_delay_alu instid0(VALU_DEP_1) | instskip(SKIP_2) | instid1(VALU_DEP_2)
	v_cmp_gt_u32_e32 vcc_lo, 16, v6
	v_cndmask_b32_e64 v1, 0, 1, vcc_lo
	v_cmp_gt_u32_e32 vcc_lo, 24, v6
	v_lshlrev_b32_e32 v1, 4, v1
	v_cndmask_b32_e64 v2, 0, 1, vcc_lo
	v_cmp_gt_u32_e32 vcc_lo, 28, v6
	s_delay_alu instid0(VALU_DEP_3) | instskip(SKIP_4) | instid1(VALU_DEP_1)
	v_add_lshl_u32 v1, v1, v6, 2
	ds_bpermute_b32 v3, v1, v5
	ds_bpermute_b32 v7, v1, v4
	s_waitcnt lgkmcnt(1)
	v_dual_add_f32 v5, v5, v3 :: v_dual_lshlrev_b32 v2, 3, v2
	v_add_lshl_u32 v2, v2, v6, 2
	s_waitcnt lgkmcnt(0)
	v_add_f32_e32 v4, v4, v7
	v_cndmask_b32_e64 v3, 0, 1, vcc_lo
	v_cmp_gt_u32_e32 vcc_lo, 30, v6
	ds_bpermute_b32 v7, v2, v5
	ds_bpermute_b32 v8, v2, v4
	s_waitcnt lgkmcnt(1)
	v_add_f32_e32 v5, v5, v7
	s_waitcnt lgkmcnt(0)
	v_add_f32_e32 v7, v4, v8
	v_cndmask_b32_e64 v4, 0, 1, vcc_lo
	v_cmp_ne_u32_e32 vcc_lo, 31, v6
	s_delay_alu instid0(VALU_DEP_2) | instskip(SKIP_1) | instid1(VALU_DEP_2)
	v_lshlrev_b32_e32 v4, 1, v4
	v_lshlrev_b32_e32 v3, 2, v3
	v_add_lshl_u32 v4, v4, v6, 2
	s_delay_alu instid0(VALU_DEP_2)
	v_add_lshl_u32 v3, v3, v6, 2
	ds_bpermute_b32 v8, v3, v5
	ds_bpermute_b32 v9, v3, v7
	s_waitcnt lgkmcnt(0)
	v_dual_add_f32 v8, v5, v8 :: v_dual_add_f32 v9, v7, v9
	v_add_co_ci_u32_e32 v5, vcc_lo, 0, v6, vcc_lo
	v_and_b32_e32 v6, 31, v0
	ds_bpermute_b32 v7, v4, v8
	ds_bpermute_b32 v10, v4, v9
	v_lshlrev_b32_e32 v5, 2, v5
	s_waitcnt lgkmcnt(0)
	v_dual_add_f32 v7, v8, v7 :: v_dual_add_f32 v8, v9, v10
	ds_bpermute_b32 v9, v5, v7
	ds_bpermute_b32 v10, v5, v8
	v_cmpx_eq_u32_e32 0, v6
	s_cbranch_execz .LBB5_17
; %bb.16:
	v_lshrrev_b32_e32 v11, 2, v0
	s_waitcnt lgkmcnt(0)
	v_dual_add_f32 v8, v8, v10 :: v_dual_add_f32 v7, v7, v9
	ds_store_2addr_b32 v11, v7, v8 offset1:1
.LBB5_17:
	s_or_b32 exec_lo, exec_lo, s2
	v_cmp_gt_u32_e32 vcc_lo, 32, v0
	v_dual_mov_b32 v7, 0 :: v_dual_lshlrev_b32 v8, 3, v6
	v_mov_b32_e32 v6, 0
	s_waitcnt lgkmcnt(0)
	s_barrier
	buffer_gl0_inv
	s_and_saveexec_b32 s2, vcc_lo
	s_cbranch_execnz .LBB5_24
; %bb.18:
	s_or_b32 exec_lo, exec_lo, s2
	s_and_saveexec_b32 s2, vcc_lo
	s_cbranch_execnz .LBB5_25
.LBB5_19:
	s_or_b32 exec_lo, exec_lo, s2
	s_and_saveexec_b32 s2, vcc_lo
	s_cbranch_execz .LBB5_21
.LBB5_20:
	s_waitcnt lgkmcnt(0)
	ds_bpermute_b32 v8, v1, v7
	ds_bpermute_b32 v1, v1, v6
	s_waitcnt lgkmcnt(1)
	v_add_f32_e32 v7, v7, v8
	s_waitcnt lgkmcnt(0)
	v_add_f32_e32 v1, v6, v1
	ds_bpermute_b32 v6, v2, v7
	s_waitcnt lgkmcnt(0)
	v_add_f32_e32 v6, v7, v6
	ds_bpermute_b32 v2, v2, v1
	;; [unrolled: 3-line block ×3, first 2 shown]
	ds_bpermute_b32 v3, v3, v1
	s_waitcnt lgkmcnt(0)
	v_dual_add_f32 v2, v6, v2 :: v_dual_add_f32 v1, v1, v3
	ds_bpermute_b32 v3, v4, v2
	ds_bpermute_b32 v4, v4, v1
	s_waitcnt lgkmcnt(0)
	v_dual_add_f32 v2, v2, v3 :: v_dual_add_f32 v1, v1, v4
	ds_bpermute_b32 v3, v5, v2
	ds_bpermute_b32 v4, v5, v1
	s_waitcnt lgkmcnt(0)
	v_dual_add_f32 v7, v2, v3 :: v_dual_add_f32 v6, v1, v4
.LBB5_21:
	s_or_b32 exec_lo, exec_lo, s2
	s_mov_b32 s3, 0
	s_mov_b32 s2, exec_lo
	v_cmpx_eq_u32_e32 0, v0
	s_cbranch_execz .LBB5_23
; %bb.22:
	s_load_b64 s[0:1], s[0:1], 0x28
	s_mul_i32 s2, s12, s15
	v_mov_b32_e32 v0, 0
	s_add_i32 s2, s2, s14
	s_delay_alu instid0(SALU_CYCLE_1) | instskip(NEXT) | instid1(SALU_CYCLE_1)
	s_lshl_b64 s[2:3], s[2:3], 2
	s_add_u32 s4, s6, s2
	s_addc_u32 s5, s7, s3
	s_waitcnt lgkmcnt(0)
	s_add_u32 s0, s0, s2
	s_addc_u32 s1, s1, s3
	s_clause 0x1
	global_store_b32 v0, v7, s[4:5]
	global_store_b32 v0, v6, s[0:1]
.LBB5_23:
	s_nop 0
	s_sendmsg sendmsg(MSG_DEALLOC_VGPRS)
	s_endpgm
.LBB5_24:
	ds_load_b32 v7, v8
	s_or_b32 exec_lo, exec_lo, s2
	s_and_saveexec_b32 s2, vcc_lo
	s_cbranch_execz .LBB5_19
.LBB5_25:
	ds_load_b32 v6, v8 offset:4
	s_or_b32 exec_lo, exec_lo, s2
	s_and_saveexec_b32 s2, vcc_lo
	s_cbranch_execnz .LBB5_20
	s_branch .LBB5_21
.LBB5_26:
                                        ; implicit-def: $sgpr8_sgpr9
	s_branch .LBB5_2
	.section	.rodata,"a",@progbits
	.p2align	6, 0x0
	.amdhsa_kernel _ZN12_GLOBAL__N_128groupnorm_kernel_dispatch_upI14__hip_bfloat16Lj1024EEEvjjlbPKT_PfS5_
		.amdhsa_group_segment_fixed_size 256
		.amdhsa_private_segment_fixed_size 0
		.amdhsa_kernarg_size 304
		.amdhsa_user_sgpr_count 14
		.amdhsa_user_sgpr_dispatch_ptr 0
		.amdhsa_user_sgpr_queue_ptr 0
		.amdhsa_user_sgpr_kernarg_segment_ptr 1
		.amdhsa_user_sgpr_dispatch_id 0
		.amdhsa_user_sgpr_private_segment_size 0
		.amdhsa_wavefront_size32 1
		.amdhsa_uses_dynamic_stack 0
		.amdhsa_enable_private_segment 0
		.amdhsa_system_sgpr_workgroup_id_x 1
		.amdhsa_system_sgpr_workgroup_id_y 1
		.amdhsa_system_sgpr_workgroup_id_z 0
		.amdhsa_system_sgpr_workgroup_info 0
		.amdhsa_system_vgpr_workitem_id 0
		.amdhsa_next_free_vgpr 12
		.amdhsa_next_free_sgpr 23
		.amdhsa_reserve_vcc 1
		.amdhsa_float_round_mode_32 0
		.amdhsa_float_round_mode_16_64 0
		.amdhsa_float_denorm_mode_32 3
		.amdhsa_float_denorm_mode_16_64 3
		.amdhsa_dx10_clamp 1
		.amdhsa_ieee_mode 1
		.amdhsa_fp16_overflow 0
		.amdhsa_workgroup_processor_mode 1
		.amdhsa_memory_ordered 1
		.amdhsa_forward_progress 0
		.amdhsa_shared_vgpr_count 0
		.amdhsa_exception_fp_ieee_invalid_op 0
		.amdhsa_exception_fp_denorm_src 0
		.amdhsa_exception_fp_ieee_div_zero 0
		.amdhsa_exception_fp_ieee_overflow 0
		.amdhsa_exception_fp_ieee_underflow 0
		.amdhsa_exception_fp_ieee_inexact 0
		.amdhsa_exception_int_div_zero 0
	.end_amdhsa_kernel
	.section	.text._ZN12_GLOBAL__N_128groupnorm_kernel_dispatch_upI14__hip_bfloat16Lj1024EEEvjjlbPKT_PfS5_,"axG",@progbits,_ZN12_GLOBAL__N_128groupnorm_kernel_dispatch_upI14__hip_bfloat16Lj1024EEEvjjlbPKT_PfS5_,comdat
.Lfunc_end5:
	.size	_ZN12_GLOBAL__N_128groupnorm_kernel_dispatch_upI14__hip_bfloat16Lj1024EEEvjjlbPKT_PfS5_, .Lfunc_end5-_ZN12_GLOBAL__N_128groupnorm_kernel_dispatch_upI14__hip_bfloat16Lj1024EEEvjjlbPKT_PfS5_
                                        ; -- End function
	.section	.AMDGPU.csdata,"",@progbits
; Kernel info:
; codeLenInByte = 1952
; NumSgprs: 25
; NumVgprs: 12
; ScratchSize: 0
; MemoryBound: 0
; FloatMode: 240
; IeeeMode: 1
; LDSByteSize: 256 bytes/workgroup (compile time only)
; SGPRBlocks: 3
; VGPRBlocks: 1
; NumSGPRsForWavesPerEU: 25
; NumVGPRsForWavesPerEU: 12
; Occupancy: 16
; WaveLimiterHint : 0
; COMPUTE_PGM_RSRC2:SCRATCH_EN: 0
; COMPUTE_PGM_RSRC2:USER_SGPR: 14
; COMPUTE_PGM_RSRC2:TRAP_HANDLER: 0
; COMPUTE_PGM_RSRC2:TGID_X_EN: 1
; COMPUTE_PGM_RSRC2:TGID_Y_EN: 1
; COMPUTE_PGM_RSRC2:TGID_Z_EN: 0
; COMPUTE_PGM_RSRC2:TIDIG_COMP_CNT: 0
	.section	.text._ZN12_GLOBAL__N_130groupnorm_kernel_dispatch_downI14__hip_bfloat16Lj1024EEEvjjlfbPKT_S4_S4_PKfS6_PS2_,"axG",@progbits,_ZN12_GLOBAL__N_130groupnorm_kernel_dispatch_downI14__hip_bfloat16Lj1024EEEvjjlfbPKT_S4_S4_PKfS6_PS2_,comdat
	.globl	_ZN12_GLOBAL__N_130groupnorm_kernel_dispatch_downI14__hip_bfloat16Lj1024EEEvjjlfbPKT_S4_S4_PKfS6_PS2_ ; -- Begin function _ZN12_GLOBAL__N_130groupnorm_kernel_dispatch_downI14__hip_bfloat16Lj1024EEEvjjlfbPKT_S4_S4_PKfS6_PS2_
	.p2align	8
	.type	_ZN12_GLOBAL__N_130groupnorm_kernel_dispatch_downI14__hip_bfloat16Lj1024EEEvjjlfbPKT_S4_S4_PKfS6_PS2_,@function
_ZN12_GLOBAL__N_130groupnorm_kernel_dispatch_downI14__hip_bfloat16Lj1024EEEvjjlfbPKT_S4_S4_PKfS6_PS2_: ; @_ZN12_GLOBAL__N_130groupnorm_kernel_dispatch_downI14__hip_bfloat16Lj1024EEEvjjlfbPKT_S4_S4_PKfS6_PS2_
; %bb.0:
	s_clause 0x1
	s_load_b32 s24, s[0:1], 0x48
	s_load_b128 s[16:19], s[0:1], 0x0
	s_add_u32 s2, s0, 0x48
	s_addc_u32 s3, s1, 0
	v_mov_b32_e32 v1, 0
	s_waitcnt lgkmcnt(0)
	s_cmp_lt_u32 s14, s24
	s_cselect_b32 s4, 12, 18
	s_delay_alu instid0(SALU_CYCLE_1)
	s_add_u32 s2, s2, s4
	s_addc_u32 s3, s3, 0
	s_mul_hi_u32 s4, s17, s18
	global_load_u16 v3, v1, s[2:3]
	s_mul_i32 s3, s17, s19
	s_mov_b32 s2, 0
	s_add_i32 s3, s4, s3
	s_mul_i32 s4, s17, s18
	s_cmp_lg_u64 s[2:3], 0
	s_cbranch_scc0 .LBB6_72
; %bb.1:
	v_cvt_f32_ubyte0_e32 v1, 0
	v_cvt_f32_u32_e32 v2, s16
	s_sub_u32 s7, 0, s16
	s_subb_u32 s8, 0, 0
	s_delay_alu instid0(VALU_DEP_1) | instskip(NEXT) | instid1(VALU_DEP_1)
	v_fmamk_f32 v1, v1, 0x4f800000, v2
	v_rcp_f32_e32 v1, v1
	s_waitcnt_depctr 0xfff
	v_mul_f32_e32 v1, 0x5f7ffffc, v1
	s_delay_alu instid0(VALU_DEP_1) | instskip(NEXT) | instid1(VALU_DEP_1)
	v_mul_f32_e32 v2, 0x2f800000, v1
	v_trunc_f32_e32 v2, v2
	s_delay_alu instid0(VALU_DEP_1) | instskip(SKIP_1) | instid1(VALU_DEP_2)
	v_fmamk_f32 v1, v2, 0xcf800000, v1
	v_cvt_u32_f32_e32 v2, v2
	v_cvt_u32_f32_e32 v1, v1
	s_delay_alu instid0(VALU_DEP_2) | instskip(NEXT) | instid1(VALU_DEP_2)
	v_readfirstlane_b32 s5, v2
	v_readfirstlane_b32 s6, v1
	s_delay_alu instid0(VALU_DEP_2) | instskip(NEXT) | instid1(VALU_DEP_1)
	s_mul_i32 s9, s7, s5
	s_mul_hi_u32 s11, s7, s6
	s_mul_i32 s10, s8, s6
	s_add_i32 s9, s11, s9
	s_mul_i32 s12, s7, s6
	s_add_i32 s9, s9, s10
	s_mul_hi_u32 s11, s6, s12
	s_mul_hi_u32 s13, s5, s12
	s_mul_i32 s10, s5, s12
	s_mul_hi_u32 s12, s6, s9
	s_mul_i32 s6, s6, s9
	s_mul_hi_u32 s20, s5, s9
	s_add_u32 s6, s11, s6
	s_addc_u32 s11, 0, s12
	s_add_u32 s6, s6, s10
	s_mul_i32 s9, s5, s9
	s_addc_u32 s6, s11, s13
	s_addc_u32 s10, s20, 0
	s_add_u32 s6, s6, s9
	s_addc_u32 s9, 0, s10
	v_add_co_u32 v1, s6, v1, s6
	s_delay_alu instid0(VALU_DEP_1) | instskip(SKIP_1) | instid1(VALU_DEP_1)
	s_cmp_lg_u32 s6, 0
	s_addc_u32 s5, s5, s9
	v_readfirstlane_b32 s6, v1
	s_mul_i32 s9, s7, s5
	s_delay_alu instid0(VALU_DEP_1)
	s_mul_hi_u32 s10, s7, s6
	s_mul_i32 s8, s8, s6
	s_add_i32 s9, s10, s9
	s_mul_i32 s7, s7, s6
	s_add_i32 s9, s9, s8
	s_mul_hi_u32 s10, s5, s7
	s_mul_i32 s11, s5, s7
	s_mul_hi_u32 s7, s6, s7
	s_mul_hi_u32 s12, s6, s9
	s_mul_i32 s6, s6, s9
	s_mul_hi_u32 s8, s5, s9
	s_add_u32 s6, s7, s6
	s_addc_u32 s7, 0, s12
	s_add_u32 s6, s6, s11
	s_mul_i32 s9, s5, s9
	s_addc_u32 s6, s7, s10
	s_addc_u32 s7, s8, 0
	s_add_u32 s6, s6, s9
	s_addc_u32 s7, 0, s7
	v_add_co_u32 v1, s6, v1, s6
	s_delay_alu instid0(VALU_DEP_1) | instskip(SKIP_2) | instid1(SALU_CYCLE_1)
	s_cmp_lg_u32 s6, 0
	s_addc_u32 s5, s5, s7
	s_ashr_i32 s6, s3, 31
	s_add_u32 s8, s4, s6
	s_addc_u32 s9, s3, s6
	v_readfirstlane_b32 s3, v1
	s_mov_b32 s7, s6
	s_delay_alu instid0(SALU_CYCLE_1) | instskip(NEXT) | instid1(SALU_CYCLE_1)
	s_xor_b64 s[8:9], s[8:9], s[6:7]
	s_mul_i32 s11, s8, s5
	s_delay_alu instid0(VALU_DEP_1)
	s_mul_hi_u32 s12, s8, s3
	s_mul_hi_u32 s10, s8, s5
	;; [unrolled: 1-line block ×3, first 2 shown]
	s_mul_i32 s3, s9, s3
	s_add_u32 s11, s12, s11
	s_addc_u32 s10, 0, s10
	s_mul_hi_u32 s13, s9, s5
	s_add_u32 s3, s11, s3
	s_mul_i32 s5, s9, s5
	s_addc_u32 s3, s10, s20
	s_addc_u32 s10, s13, 0
	s_add_u32 s3, s3, s5
	s_addc_u32 s5, 0, s10
	s_mul_i32 s11, s16, s3
	s_add_u32 s10, s3, 1
	v_sub_co_u32 v1, s8, s8, s11
	s_mul_hi_u32 s11, s16, s3
	s_addc_u32 s12, s5, 0
	s_mul_i32 s13, s16, s5
	s_delay_alu instid0(VALU_DEP_1)
	v_sub_co_u32 v2, s20, v1, s16
	s_add_u32 s21, s3, 2
	s_addc_u32 s22, s5, 0
	s_add_i32 s11, s11, s13
	s_cmp_lg_u32 s8, 0
	v_readfirstlane_b32 s8, v2
	s_subb_u32 s9, s9, s11
	s_cmp_lg_u32 s20, 0
	s_subb_u32 s11, s9, 0
	s_delay_alu instid0(VALU_DEP_1) | instskip(SKIP_4) | instid1(SALU_CYCLE_1)
	s_cmp_ge_u32 s8, s16
	s_cselect_b32 s8, -1, 0
	s_cmp_eq_u32 s11, 0
	v_readfirstlane_b32 s11, v1
	s_cselect_b32 s8, s8, -1
	s_cmp_lg_u32 s8, 0
	s_cselect_b32 s8, s21, s10
	s_cselect_b32 s10, s22, s12
	s_cmp_ge_u32 s11, s16
	s_cselect_b32 s11, -1, 0
	s_cmp_eq_u32 s9, 0
	s_cselect_b32 s9, s11, -1
	s_delay_alu instid0(SALU_CYCLE_1) | instskip(SKIP_2) | instid1(SALU_CYCLE_1)
	s_cmp_lg_u32 s9, 0
	s_cselect_b32 s9, s10, s5
	s_cselect_b32 s8, s8, s3
	s_xor_b64 s[8:9], s[8:9], s[6:7]
	s_delay_alu instid0(SALU_CYCLE_1)
	s_sub_u32 s12, s8, s6
	s_and_not1_b32 vcc_lo, exec_lo, s2
	s_cbranch_vccnz .LBB6_3
.LBB6_2:
	v_cvt_f32_u32_e32 v1, s16
	s_sub_i32 s3, 0, s16
	s_delay_alu instid0(VALU_DEP_1) | instskip(SKIP_2) | instid1(VALU_DEP_1)
	v_rcp_iflag_f32_e32 v1, v1
	s_waitcnt_depctr 0xfff
	v_mul_f32_e32 v1, 0x4f7ffffe, v1
	v_cvt_u32_f32_e32 v1, v1
	s_delay_alu instid0(VALU_DEP_1) | instskip(NEXT) | instid1(VALU_DEP_1)
	v_readfirstlane_b32 s2, v1
	s_mul_i32 s3, s3, s2
	s_delay_alu instid0(SALU_CYCLE_1) | instskip(NEXT) | instid1(SALU_CYCLE_1)
	s_mul_hi_u32 s3, s2, s3
	s_add_i32 s2, s2, s3
	s_delay_alu instid0(SALU_CYCLE_1) | instskip(NEXT) | instid1(SALU_CYCLE_1)
	s_mul_hi_u32 s2, s4, s2
	s_mul_i32 s3, s2, s16
	s_delay_alu instid0(SALU_CYCLE_1)
	s_sub_i32 s3, s4, s3
	s_add_i32 s4, s2, 1
	s_sub_i32 s5, s3, s16
	s_cmp_ge_u32 s3, s16
	s_cselect_b32 s2, s4, s2
	s_cselect_b32 s3, s5, s3
	s_add_i32 s4, s2, 1
	s_cmp_ge_u32 s3, s16
	s_cselect_b32 s12, s4, s2
.LBB6_3:
	s_clause 0x1
	s_load_b256 s[4:11], s[0:1], 0x18
	s_load_b128 s[20:23], s[0:1], 0x38
	v_dual_mov_b32 v6, 0 :: v_dual_mov_b32 v7, 0
	s_mov_b32 s2, exec_lo
	v_cmpx_gt_u32_e64 s24, v0
	s_cbranch_execz .LBB6_7
; %bb.4:
	v_dual_mov_b32 v6, 0 :: v_dual_mov_b32 v7, 0
	v_mov_b32_e32 v2, 0
	v_mov_b32_e32 v4, v0
	s_mul_i32 s13, s24, s15
	s_mov_b32 s3, 0
	.p2align	6
.LBB6_5:                                ; =>This Inner Loop Header: Depth=1
	s_delay_alu instid0(VALU_DEP_1) | instskip(NEXT) | instid1(VALU_DEP_1)
	v_add_nc_u32_e32 v1, s13, v4
	v_lshlrev_b64 v[8:9], 2, v[1:2]
	s_waitcnt lgkmcnt(0)
	s_delay_alu instid0(VALU_DEP_1) | instskip(NEXT) | instid1(VALU_DEP_2)
	v_add_co_u32 v10, vcc_lo, s10, v8
	v_add_co_ci_u32_e32 v11, vcc_lo, s11, v9, vcc_lo
	v_add_co_u32 v8, vcc_lo, s20, v8
	v_add_co_ci_u32_e32 v9, vcc_lo, s21, v9, vcc_lo
	global_load_b32 v1, v[10:11], off
	global_load_b32 v5, v[8:9], off
	v_add_nc_u32_e32 v4, 0x400, v4
	s_waitcnt vmcnt(1)
	v_add_f32_e32 v6, v6, v1
	s_waitcnt vmcnt(0)
	v_add_f32_e32 v7, v7, v5
	v_cmp_le_u32_e32 vcc_lo, s24, v4
	s_or_b32 s3, vcc_lo, s3
	s_delay_alu instid0(SALU_CYCLE_1)
	s_and_not1_b32 exec_lo, exec_lo, s3
	s_cbranch_execnz .LBB6_5
; %bb.6:
	s_or_b32 exec_lo, exec_lo, s3
.LBB6_7:
	s_delay_alu instid0(SALU_CYCLE_1) | instskip(SKIP_3) | instid1(VALU_DEP_1)
	s_or_b32 exec_lo, exec_lo, s2
	v_mbcnt_lo_u32_b32 v1, -1, 0
	s_mov_b32 s13, s17
	s_mov_b32 s2, exec_lo
	v_cmp_gt_u32_e32 vcc_lo, 16, v1
	v_cndmask_b32_e64 v2, 0, 1, vcc_lo
	v_cmp_gt_u32_e32 vcc_lo, 24, v1
	s_delay_alu instid0(VALU_DEP_2) | instskip(SKIP_2) | instid1(VALU_DEP_3)
	v_lshlrev_b32_e32 v2, 4, v2
	v_cndmask_b32_e64 v5, 0, 1, vcc_lo
	v_cmp_gt_u32_e32 vcc_lo, 28, v1
	v_add_lshl_u32 v4, v2, v1, 2
	ds_bpermute_b32 v2, v4, v6
	ds_bpermute_b32 v8, v4, v7
	s_waitcnt lgkmcnt(0)
	v_dual_add_f32 v2, v6, v2 :: v_dual_lshlrev_b32 v5, 3, v5
	s_delay_alu instid0(VALU_DEP_1)
	v_add_lshl_u32 v5, v5, v1, 2
	v_add_f32_e32 v7, v7, v8
	v_cndmask_b32_e64 v6, 0, 1, vcc_lo
	v_cmp_gt_u32_e32 vcc_lo, 30, v1
	ds_bpermute_b32 v8, v5, v2
	ds_bpermute_b32 v9, v5, v7
	v_lshlrev_b32_e32 v6, 2, v6
	s_delay_alu instid0(VALU_DEP_1)
	v_add_lshl_u32 v6, v6, v1, 2
	s_waitcnt lgkmcnt(1)
	v_add_f32_e32 v2, v2, v8
	s_waitcnt lgkmcnt(0)
	v_add_f32_e32 v8, v7, v9
	v_cndmask_b32_e64 v7, 0, 1, vcc_lo
	v_cmp_ne_u32_e32 vcc_lo, 31, v1
	ds_bpermute_b32 v10, v6, v8
	v_lshlrev_b32_e32 v7, 1, v7
	ds_bpermute_b32 v9, v6, v2
	v_add_lshl_u32 v7, v7, v1, 2
	v_add_co_ci_u32_e32 v1, vcc_lo, 0, v1, vcc_lo
	s_waitcnt lgkmcnt(0)
	v_dual_add_f32 v2, v2, v9 :: v_dual_add_f32 v9, v8, v10
	s_delay_alu instid0(VALU_DEP_2)
	v_lshlrev_b32_e32 v8, 2, v1
	v_and_b32_e32 v1, 31, v0
	ds_bpermute_b32 v10, v7, v2
	ds_bpermute_b32 v11, v7, v9
	s_waitcnt lgkmcnt(0)
	v_dual_add_f32 v2, v2, v10 :: v_dual_add_f32 v9, v9, v11
	ds_bpermute_b32 v10, v8, v2
	ds_bpermute_b32 v11, v8, v9
	v_cmpx_eq_u32_e32 0, v1
	s_cbranch_execz .LBB6_9
; %bb.8:
	v_lshrrev_b32_e32 v12, 2, v0
	s_waitcnt lgkmcnt(0)
	v_dual_add_f32 v9, v9, v11 :: v_dual_add_f32 v2, v2, v10
	ds_store_2addr_b32 v12, v2, v9 offset1:1
.LBB6_9:
	s_or_b32 exec_lo, exec_lo, s2
	v_cmp_gt_u32_e32 vcc_lo, 32, v0
	v_dual_mov_b32 v2, 0 :: v_dual_lshlrev_b32 v9, 3, v1
	v_mov_b32_e32 v1, 0
	s_waitcnt vmcnt(0) lgkmcnt(0)
	s_barrier
	buffer_gl0_inv
	s_and_saveexec_b32 s2, vcc_lo
	s_cbranch_execnz .LBB6_36
; %bb.10:
	s_or_b32 exec_lo, exec_lo, s2
	s_and_saveexec_b32 s2, vcc_lo
	s_cbranch_execnz .LBB6_37
.LBB6_11:
	s_or_b32 exec_lo, exec_lo, s2
	s_and_saveexec_b32 s2, vcc_lo
	s_cbranch_execz .LBB6_13
.LBB6_12:
	s_waitcnt lgkmcnt(0)
	ds_bpermute_b32 v9, v4, v1
	ds_bpermute_b32 v4, v4, v2
	s_waitcnt lgkmcnt(0)
	v_dual_add_f32 v1, v1, v9 :: v_dual_add_f32 v2, v2, v4
	ds_bpermute_b32 v4, v5, v1
	ds_bpermute_b32 v5, v5, v2
	s_waitcnt lgkmcnt(0)
	v_dual_add_f32 v1, v1, v4 :: v_dual_add_f32 v2, v2, v5
	ds_bpermute_b32 v4, v6, v1
	ds_bpermute_b32 v5, v6, v2
	s_waitcnt lgkmcnt(0)
	v_dual_add_f32 v1, v1, v4 :: v_dual_add_f32 v2, v2, v5
	ds_bpermute_b32 v4, v7, v1
	ds_bpermute_b32 v5, v7, v2
	s_waitcnt lgkmcnt(0)
	v_dual_add_f32 v1, v1, v4 :: v_dual_add_f32 v2, v2, v5
	ds_bpermute_b32 v4, v8, v1
	ds_bpermute_b32 v5, v8, v2
	s_waitcnt lgkmcnt(0)
	v_dual_add_f32 v1, v1, v4 :: v_dual_add_f32 v2, v2, v5
.LBB6_13:
	s_or_b32 exec_lo, exec_lo, s2
	s_delay_alu instid0(SALU_CYCLE_1)
	s_mov_b32 s2, exec_lo
	v_cmpx_eq_u32_e32 0, v0
	s_cbranch_execz .LBB6_15
; %bb.14:
	v_mov_b32_e32 v4, 0
	s_waitcnt lgkmcnt(0)
	ds_store_b64 v4, v[1:2]
.LBB6_15:
	s_or_b32 exec_lo, exec_lo, s2
	s_waitcnt lgkmcnt(0)
	v_mov_b32_e32 v1, 0
	s_barrier
	buffer_gl0_inv
	v_cvt_f32_u32_e32 v4, s12
	ds_load_b64 v[1:2], v1
	s_load_b64 s[0:1], s[0:1], 0x10
	v_and_b32_e32 v3, 0xffff, v3
	s_waitcnt lgkmcnt(0)
	v_div_scale_f32 v5, null, v4, v4, v1
	v_div_scale_f32 v6, null, v4, v4, v2
	v_div_scale_f32 v11, vcc_lo, v1, v4, v1
	s_delay_alu instid0(VALU_DEP_3) | instskip(NEXT) | instid1(VALU_DEP_2)
	v_rcp_f32_e32 v7, v5
	v_rcp_f32_e32 v8, v6
	s_bitcmp1_b32 s1, 0
	s_waitcnt_depctr 0xfff
	v_fma_f32 v9, -v5, v7, 1.0
	v_fma_f32 v10, -v6, v8, 1.0
	s_delay_alu instid0(VALU_DEP_1) | instskip(SKIP_1) | instid1(VALU_DEP_1)
	v_dual_fmac_f32 v8, v10, v8 :: v_dual_fmac_f32 v7, v9, v7
	v_div_scale_f32 v9, s2, v2, v4, v2
	v_mul_f32_e32 v12, v9, v8
	s_delay_alu instid0(VALU_DEP_1) | instskip(NEXT) | instid1(VALU_DEP_1)
	v_fma_f32 v14, -v6, v12, v9
	v_fmac_f32_e32 v12, v14, v8
	v_mul_f32_e32 v10, v11, v7
	s_delay_alu instid0(VALU_DEP_2) | instskip(NEXT) | instid1(VALU_DEP_2)
	v_fma_f32 v6, -v6, v12, v9
	v_fma_f32 v13, -v5, v10, v11
	s_delay_alu instid0(VALU_DEP_1) | instskip(NEXT) | instid1(VALU_DEP_1)
	v_fmac_f32_e32 v10, v13, v7
	v_fma_f32 v5, -v5, v10, v11
	s_delay_alu instid0(VALU_DEP_1) | instskip(SKIP_2) | instid1(VALU_DEP_2)
	v_div_fmas_f32 v5, v5, v7, v10
	s_mov_b32 vcc_lo, s2
	v_div_fmas_f32 v6, v6, v8, v12
	v_div_fixup_f32 v8, v5, v4, v1
	s_delay_alu instid0(VALU_DEP_2) | instskip(NEXT) | instid1(VALU_DEP_1)
	v_div_fixup_f32 v1, v6, v4, v2
	v_fma_f32 v1, -v8, v8, v1
	s_delay_alu instid0(VALU_DEP_1) | instskip(SKIP_1) | instid1(VALU_DEP_1)
	v_add_f32_e32 v1, s0, v1
	s_cselect_b32 s0, -1, 0
	v_cvt_f64_f32_e32 v[1:2], v1
	s_delay_alu instid0(VALU_DEP_1) | instskip(SKIP_3) | instid1(VALU_DEP_2)
	v_rsq_f64_e32 v[4:5], v[1:2]
	s_waitcnt_depctr 0xfff
	v_mul_f64 v[1:2], v[4:5], -v[1:2]
	v_cmp_class_f64_e64 vcc_lo, v[4:5], 0x180
	v_fma_f64 v[1:2], v[1:2], v[4:5], 1.0
	s_delay_alu instid0(VALU_DEP_1) | instskip(SKIP_1) | instid1(VALU_DEP_1)
	v_mul_f64 v[6:7], v[4:5], v[1:2]
	v_fma_f64 v[1:2], 0x3fd80000, v[1:2], 0.5
	v_fma_f64 v[1:2], v[6:7], v[1:2], v[4:5]
	s_delay_alu instid0(VALU_DEP_1) | instskip(SKIP_2) | instid1(VALU_DEP_1)
	v_dual_cndmask_b32 v2, v5, v2 :: v_dual_cndmask_b32 v1, v4, v1
	s_and_b32 vcc_lo, exec_lo, s0
	s_mov_b32 s0, -1
	v_cvt_f32_f64_e32 v9, v[1:2]
	v_mad_u64_u32 v[1:2], null, s14, v3, v[0:1]
	s_cbranch_vccnz .LBB6_39
; %bb.16:
	s_mov_b32 s1, exec_lo
	s_delay_alu instid0(VALU_DEP_1)
	v_cmpx_gt_u32_e64 s12, v1
	s_cbranch_execz .LBB6_38
; %bb.17:
	v_cvt_f32_ubyte0_e32 v2, 0
	v_cvt_f32_u32_e32 v3, s13
	v_cvt_f32_u32_e32 v0, s18
	s_cmp_lg_u64 s[6:7], 0
	s_mov_b32 s2, 0
	s_delay_alu instid0(VALU_DEP_2) | instskip(NEXT) | instid1(VALU_DEP_2)
	v_dual_mov_b32 v12, v1 :: v_dual_fmac_f32 v3, 0x4f800000, v2
	v_rcp_iflag_f32_e32 v0, v0
	s_cselect_b32 s14, -1, 0
	s_cmp_lg_u64 s[8:9], 0
	s_mul_i32 s21, s15, s12
	v_rcp_f32_e32 v2, v3
	s_cselect_b32 s20, -1, 0
	s_sub_i32 s0, 0, s18
	s_mov_b32 s3, s19
	s_lshl_b32 s25, s24, 10
	s_ashr_i32 s10, s19, 31
	s_waitcnt_depctr 0xfff
	v_mul_f32_e32 v0, 0x4f7ffffe, v0
	s_sub_i32 s26, 0, s13
	s_mov_b32 s27, s2
	v_mul_f32_e32 v2, 0x5f7ffffc, v2
	s_delay_alu instid0(VALU_DEP_1) | instskip(NEXT) | instid1(VALU_DEP_1)
	v_mul_f32_e32 v3, 0x2f800000, v2
	v_trunc_f32_e32 v5, v3
	v_mov_b32_e32 v3, 0
	v_cvt_u32_f32_e32 v4, v0
	s_delay_alu instid0(VALU_DEP_1) | instskip(NEXT) | instid1(VALU_DEP_1)
	v_mul_lo_u32 v0, s0, v4
	v_mul_hi_u32 v6, v4, v0
	v_fmac_f32_e32 v2, 0xcf800000, v5
	v_cvt_u32_f32_e32 v0, v5
	s_delay_alu instid0(VALU_DEP_3) | instskip(NEXT) | instid1(VALU_DEP_3)
	v_add_nc_u32_e32 v11, v4, v6
	v_cvt_u32_f32_e32 v10, v2
	s_branch .LBB6_19
.LBB6_18:                               ;   in Loop: Header=BB6_19 Depth=1
	s_or_b32 exec_lo, exec_lo, s0
	v_add_nc_u32_e32 v12, s25, v12
	v_add_co_u32 v4, s0, s22, v4
	s_delay_alu instid0(VALU_DEP_1) | instskip(NEXT) | instid1(VALU_DEP_3)
	v_add_co_ci_u32_e64 v5, s0, s23, v5, s0
	v_cmp_le_u32_e32 vcc_lo, s12, v12
	global_store_d16_hi_b16 v[4:5], v2, off
	s_or_b32 s27, vcc_lo, s27
	s_delay_alu instid0(SALU_CYCLE_1)
	s_and_not1_b32 exec_lo, exec_lo, s27
	s_cbranch_execz .LBB6_38
.LBB6_19:                               ; =>This Inner Loop Header: Depth=1
	v_add_nc_u32_e32 v2, s21, v12
	s_cmp_lg_u64 s[2:3], 0
	s_cbranch_scc0 .LBB6_35
; %bb.20:                               ;   in Loop: Header=BB6_19 Depth=1
	s_add_u32 s16, s18, s10
	s_mov_b32 s11, s10
	s_addc_u32 s17, s19, s10
	s_delay_alu instid0(SALU_CYCLE_1) | instskip(NEXT) | instid1(SALU_CYCLE_1)
	s_xor_b64 s[16:17], s[16:17], s[10:11]
	v_cvt_f32_u32_e32 v4, s16
	v_cvt_f32_u32_e32 v5, s17
	s_sub_u32 s0, 0, s16
	s_subb_u32 s11, 0, s17
	s_delay_alu instid0(VALU_DEP_1) | instskip(NEXT) | instid1(VALU_DEP_1)
	v_fmac_f32_e32 v4, 0x4f800000, v5
	v_rcp_f32_e32 v4, v4
	s_waitcnt_depctr 0xfff
	v_mul_f32_e32 v4, 0x5f7ffffc, v4
	s_delay_alu instid0(VALU_DEP_1) | instskip(NEXT) | instid1(VALU_DEP_1)
	v_mul_f32_e32 v5, 0x2f800000, v4
	v_trunc_f32_e32 v5, v5
	s_delay_alu instid0(VALU_DEP_1) | instskip(SKIP_1) | instid1(VALU_DEP_2)
	v_fmac_f32_e32 v4, 0xcf800000, v5
	v_cvt_u32_f32_e32 v5, v5
	v_cvt_u32_f32_e32 v4, v4
	s_delay_alu instid0(VALU_DEP_2) | instskip(NEXT) | instid1(VALU_DEP_2)
	v_mul_lo_u32 v6, s0, v5
	v_mul_hi_u32 v7, s0, v4
	v_mul_lo_u32 v13, s11, v4
	s_delay_alu instid0(VALU_DEP_2) | instskip(SKIP_1) | instid1(VALU_DEP_2)
	v_add_nc_u32_e32 v6, v7, v6
	v_mul_lo_u32 v7, s0, v4
	v_add_nc_u32_e32 v6, v6, v13
	s_delay_alu instid0(VALU_DEP_2) | instskip(NEXT) | instid1(VALU_DEP_2)
	v_mul_hi_u32 v13, v4, v7
	v_mul_lo_u32 v14, v4, v6
	v_mul_hi_u32 v15, v4, v6
	v_mul_hi_u32 v16, v5, v7
	v_mul_lo_u32 v7, v5, v7
	v_mul_hi_u32 v17, v5, v6
	v_mul_lo_u32 v6, v5, v6
	v_add_co_u32 v13, vcc_lo, v13, v14
	v_add_co_ci_u32_e32 v14, vcc_lo, 0, v15, vcc_lo
	s_delay_alu instid0(VALU_DEP_2) | instskip(NEXT) | instid1(VALU_DEP_2)
	v_add_co_u32 v7, vcc_lo, v13, v7
	v_add_co_ci_u32_e32 v7, vcc_lo, v14, v16, vcc_lo
	v_add_co_ci_u32_e32 v13, vcc_lo, 0, v17, vcc_lo
	s_delay_alu instid0(VALU_DEP_2) | instskip(NEXT) | instid1(VALU_DEP_2)
	v_add_co_u32 v6, vcc_lo, v7, v6
	v_add_co_ci_u32_e32 v7, vcc_lo, 0, v13, vcc_lo
	s_delay_alu instid0(VALU_DEP_2) | instskip(NEXT) | instid1(VALU_DEP_2)
	v_add_co_u32 v4, vcc_lo, v4, v6
	v_add_co_ci_u32_e32 v5, vcc_lo, v5, v7, vcc_lo
	s_delay_alu instid0(VALU_DEP_2) | instskip(SKIP_1) | instid1(VALU_DEP_3)
	v_mul_hi_u32 v6, s0, v4
	v_mul_lo_u32 v13, s11, v4
	v_mul_lo_u32 v7, s0, v5
	s_delay_alu instid0(VALU_DEP_1) | instskip(SKIP_1) | instid1(VALU_DEP_2)
	v_add_nc_u32_e32 v6, v6, v7
	v_mul_lo_u32 v7, s0, v4
	v_add_nc_u32_e32 v6, v6, v13
	s_delay_alu instid0(VALU_DEP_2) | instskip(NEXT) | instid1(VALU_DEP_2)
	v_mul_hi_u32 v13, v4, v7
	v_mul_lo_u32 v14, v4, v6
	v_mul_hi_u32 v15, v4, v6
	v_mul_hi_u32 v16, v5, v7
	v_mul_lo_u32 v7, v5, v7
	v_mul_hi_u32 v17, v5, v6
	v_mul_lo_u32 v6, v5, v6
	v_add_co_u32 v13, vcc_lo, v13, v14
	v_add_co_ci_u32_e32 v14, vcc_lo, 0, v15, vcc_lo
	s_delay_alu instid0(VALU_DEP_2) | instskip(NEXT) | instid1(VALU_DEP_2)
	v_add_co_u32 v7, vcc_lo, v13, v7
	v_add_co_ci_u32_e32 v7, vcc_lo, v14, v16, vcc_lo
	v_add_co_ci_u32_e32 v13, vcc_lo, 0, v17, vcc_lo
	s_delay_alu instid0(VALU_DEP_2) | instskip(NEXT) | instid1(VALU_DEP_2)
	v_add_co_u32 v6, vcc_lo, v7, v6
	v_add_co_ci_u32_e32 v7, vcc_lo, 0, v13, vcc_lo
	s_delay_alu instid0(VALU_DEP_2) | instskip(NEXT) | instid1(VALU_DEP_2)
	v_add_co_u32 v13, vcc_lo, v4, v6
	v_add_co_ci_u32_e32 v15, vcc_lo, v5, v7, vcc_lo
	s_delay_alu instid0(VALU_DEP_2) | instskip(SKIP_1) | instid1(VALU_DEP_3)
	v_mul_hi_u32 v16, v2, v13
	v_mad_u64_u32 v[6:7], null, 0, v13, 0
	v_mad_u64_u32 v[4:5], null, v2, v15, 0
	;; [unrolled: 1-line block ×3, first 2 shown]
	s_delay_alu instid0(VALU_DEP_2) | instskip(NEXT) | instid1(VALU_DEP_3)
	v_add_co_u32 v4, vcc_lo, v16, v4
	v_add_co_ci_u32_e32 v5, vcc_lo, 0, v5, vcc_lo
	s_delay_alu instid0(VALU_DEP_2) | instskip(NEXT) | instid1(VALU_DEP_2)
	v_add_co_u32 v4, vcc_lo, v4, v6
	v_add_co_ci_u32_e32 v4, vcc_lo, v5, v7, vcc_lo
	v_add_co_ci_u32_e32 v5, vcc_lo, 0, v14, vcc_lo
	s_delay_alu instid0(VALU_DEP_2) | instskip(NEXT) | instid1(VALU_DEP_2)
	v_add_co_u32 v6, vcc_lo, v4, v13
	v_add_co_ci_u32_e32 v7, vcc_lo, 0, v5, vcc_lo
	s_delay_alu instid0(VALU_DEP_2) | instskip(SKIP_1) | instid1(VALU_DEP_3)
	v_mul_lo_u32 v13, s17, v6
	v_mad_u64_u32 v[4:5], null, s16, v6, 0
	v_mul_lo_u32 v14, s16, v7
	s_delay_alu instid0(VALU_DEP_2) | instskip(NEXT) | instid1(VALU_DEP_2)
	v_sub_co_u32 v4, vcc_lo, v2, v4
	v_add3_u32 v5, v5, v14, v13
	s_delay_alu instid0(VALU_DEP_1) | instskip(NEXT) | instid1(VALU_DEP_1)
	v_sub_nc_u32_e32 v13, 0, v5
	v_subrev_co_ci_u32_e64 v13, s0, s17, v13, vcc_lo
	v_add_co_u32 v14, s0, v6, 2
	s_delay_alu instid0(VALU_DEP_1) | instskip(SKIP_3) | instid1(VALU_DEP_3)
	v_add_co_ci_u32_e64 v15, s0, 0, v7, s0
	v_sub_co_u32 v16, s0, v4, s16
	v_sub_co_ci_u32_e32 v5, vcc_lo, 0, v5, vcc_lo
	v_subrev_co_ci_u32_e64 v13, s0, 0, v13, s0
	v_cmp_le_u32_e32 vcc_lo, s16, v16
	s_delay_alu instid0(VALU_DEP_3) | instskip(SKIP_1) | instid1(VALU_DEP_4)
	v_cmp_eq_u32_e64 s0, s17, v5
	v_cndmask_b32_e64 v16, 0, -1, vcc_lo
	v_cmp_le_u32_e32 vcc_lo, s17, v13
	v_cndmask_b32_e64 v17, 0, -1, vcc_lo
	v_cmp_le_u32_e32 vcc_lo, s16, v4
	;; [unrolled: 2-line block ×3, first 2 shown]
	v_cndmask_b32_e64 v18, 0, -1, vcc_lo
	v_cmp_eq_u32_e32 vcc_lo, s17, v13
	s_delay_alu instid0(VALU_DEP_2) | instskip(SKIP_3) | instid1(VALU_DEP_3)
	v_cndmask_b32_e64 v4, v18, v4, s0
	v_cndmask_b32_e32 v13, v17, v16, vcc_lo
	v_add_co_u32 v16, vcc_lo, v6, 1
	v_add_co_ci_u32_e32 v17, vcc_lo, 0, v7, vcc_lo
	v_cmp_ne_u32_e32 vcc_lo, 0, v13
	s_delay_alu instid0(VALU_DEP_3) | instskip(NEXT) | instid1(VALU_DEP_3)
	v_cndmask_b32_e32 v13, v16, v14, vcc_lo
	v_cndmask_b32_e32 v5, v17, v15, vcc_lo
	v_cmp_ne_u32_e32 vcc_lo, 0, v4
	s_delay_alu instid0(VALU_DEP_2) | instskip(NEXT) | instid1(VALU_DEP_4)
	v_cndmask_b32_e32 v4, v7, v5, vcc_lo
	v_cndmask_b32_e32 v5, v6, v13, vcc_lo
	s_delay_alu instid0(VALU_DEP_2) | instskip(NEXT) | instid1(VALU_DEP_2)
	v_xor_b32_e32 v6, s10, v4
	v_xor_b32_e32 v5, s10, v5
	s_delay_alu instid0(VALU_DEP_1) | instskip(NEXT) | instid1(VALU_DEP_3)
	v_sub_co_u32 v4, vcc_lo, v5, s10
	v_subrev_co_ci_u32_e32 v5, vcc_lo, s10, v6, vcc_lo
	s_cbranch_execnz .LBB6_22
.LBB6_21:                               ;   in Loop: Header=BB6_19 Depth=1
	s_delay_alu instid0(VALU_DEP_1) | instskip(NEXT) | instid1(VALU_DEP_1)
	v_mul_hi_u32 v4, v2, v11
	v_mul_lo_u32 v5, v4, s18
	s_delay_alu instid0(VALU_DEP_1) | instskip(NEXT) | instid1(VALU_DEP_1)
	v_sub_nc_u32_e32 v5, v2, v5
	v_subrev_nc_u32_e32 v7, s18, v5
	v_cmp_le_u32_e32 vcc_lo, s18, v5
	s_delay_alu instid0(VALU_DEP_2) | instskip(NEXT) | instid1(VALU_DEP_1)
	v_dual_cndmask_b32 v5, v5, v7 :: v_dual_add_nc_u32 v6, 1, v4
	v_cndmask_b32_e32 v4, v4, v6, vcc_lo
	s_delay_alu instid0(VALU_DEP_2) | instskip(NEXT) | instid1(VALU_DEP_2)
	v_cmp_le_u32_e32 vcc_lo, s18, v5
	v_dual_mov_b32 v5, v3 :: v_dual_add_nc_u32 v6, 1, v4
	s_delay_alu instid0(VALU_DEP_1)
	v_cndmask_b32_e32 v4, v4, v6, vcc_lo
.LBB6_22:                               ;   in Loop: Header=BB6_19 Depth=1
	s_delay_alu instid0(VALU_DEP_1) | instskip(NEXT) | instid1(VALU_DEP_1)
	v_dual_mov_b32 v6, v3 :: v_dual_mov_b32 v7, v5
	v_cmp_ne_u64_e32 vcc_lo, 0, v[6:7]
                                        ; implicit-def: $vgpr6_vgpr7
	s_and_saveexec_b32 s0, vcc_lo
	s_delay_alu instid0(SALU_CYCLE_1)
	s_xor_b32 s0, exec_lo, s0
	s_cbranch_execnz .LBB6_27
; %bb.23:                               ;   in Loop: Header=BB6_19 Depth=1
	s_and_not1_saveexec_b32 s0, s0
	s_cbranch_execnz .LBB6_28
.LBB6_24:                               ;   in Loop: Header=BB6_19 Depth=1
	s_or_b32 exec_lo, exec_lo, s0
	s_delay_alu instid0(SALU_CYCLE_1)
	s_and_not1_b32 vcc_lo, exec_lo, s14
	s_cbranch_vccnz .LBB6_29
.LBB6_25:                               ;   in Loop: Header=BB6_19 Depth=1
	v_mov_b32_e32 v7, v3
	s_delay_alu instid0(VALU_DEP_1) | instskip(NEXT) | instid1(VALU_DEP_1)
	v_lshlrev_b64 v[4:5], 1, v[6:7]
	v_add_co_u32 v4, vcc_lo, s6, v4
	s_delay_alu instid0(VALU_DEP_2)
	v_add_co_ci_u32_e32 v5, vcc_lo, s7, v5, vcc_lo
	global_load_u16 v4, v[4:5], off
	s_waitcnt vmcnt(0)
	v_lshlrev_b32_e32 v13, 16, v4
	s_and_not1_b32 vcc_lo, exec_lo, s20
	s_cbranch_vccnz .LBB6_30
.LBB6_26:                               ;   in Loop: Header=BB6_19 Depth=1
	v_mov_b32_e32 v7, v3
	s_delay_alu instid0(VALU_DEP_1) | instskip(NEXT) | instid1(VALU_DEP_1)
	v_lshlrev_b64 v[4:5], 1, v[6:7]
	v_add_co_u32 v4, vcc_lo, s8, v4
	s_delay_alu instid0(VALU_DEP_2)
	v_add_co_ci_u32_e32 v5, vcc_lo, s9, v5, vcc_lo
	global_load_u16 v4, v[4:5], off
	s_waitcnt vmcnt(0)
	v_lshlrev_b32_e32 v6, 16, v4
	s_branch .LBB6_31
.LBB6_27:                               ;   in Loop: Header=BB6_19 Depth=1
	s_sub_u32 s11, 0, s13
	s_subb_u32 s16, 0, 0
	v_mul_hi_u32 v6, s11, v10
	v_mul_lo_u32 v7, s11, v0
	v_mul_lo_u32 v13, s16, v10
	v_ashrrev_i32_e32 v18, 31, v5
	s_delay_alu instid0(VALU_DEP_3) | instskip(SKIP_1) | instid1(VALU_DEP_2)
	v_add_nc_u32_e32 v6, v6, v7
	v_mul_lo_u32 v7, s11, v10
	v_add_nc_u32_e32 v6, v6, v13
	s_delay_alu instid0(VALU_DEP_2) | instskip(NEXT) | instid1(VALU_DEP_2)
	v_mul_hi_u32 v13, v10, v7
	v_mul_lo_u32 v14, v10, v6
	v_mul_hi_u32 v15, v10, v6
	v_mul_hi_u32 v16, v0, v7
	v_mul_lo_u32 v7, v0, v7
	v_mul_hi_u32 v17, v0, v6
	v_mul_lo_u32 v6, v0, v6
	v_add_co_u32 v13, vcc_lo, v13, v14
	v_add_co_ci_u32_e32 v14, vcc_lo, 0, v15, vcc_lo
	s_delay_alu instid0(VALU_DEP_2) | instskip(NEXT) | instid1(VALU_DEP_2)
	v_add_co_u32 v7, vcc_lo, v13, v7
	v_add_co_ci_u32_e32 v7, vcc_lo, v14, v16, vcc_lo
	v_add_co_ci_u32_e32 v13, vcc_lo, 0, v17, vcc_lo
	s_delay_alu instid0(VALU_DEP_2) | instskip(NEXT) | instid1(VALU_DEP_2)
	v_add_co_u32 v6, vcc_lo, v7, v6
	v_add_co_ci_u32_e32 v7, vcc_lo, 0, v13, vcc_lo
	s_delay_alu instid0(VALU_DEP_2) | instskip(NEXT) | instid1(VALU_DEP_2)
	v_add_co_u32 v6, vcc_lo, v10, v6
	v_add_co_ci_u32_e32 v7, vcc_lo, v0, v7, vcc_lo
	s_delay_alu instid0(VALU_DEP_2) | instskip(SKIP_1) | instid1(VALU_DEP_3)
	v_mul_hi_u32 v13, s11, v6
	v_mul_lo_u32 v15, s16, v6
	v_mul_lo_u32 v14, s11, v7
	s_delay_alu instid0(VALU_DEP_1) | instskip(SKIP_1) | instid1(VALU_DEP_2)
	v_add_nc_u32_e32 v13, v13, v14
	v_mul_lo_u32 v14, s11, v6
	v_add_nc_u32_e32 v13, v13, v15
	s_delay_alu instid0(VALU_DEP_2) | instskip(NEXT) | instid1(VALU_DEP_2)
	v_mul_hi_u32 v15, v6, v14
	v_mul_lo_u32 v16, v6, v13
	v_mul_hi_u32 v17, v6, v13
	v_mul_hi_u32 v19, v7, v14
	v_mul_lo_u32 v14, v7, v14
	v_mul_hi_u32 v20, v7, v13
	v_mul_lo_u32 v13, v7, v13
	v_add_co_u32 v15, vcc_lo, v15, v16
	v_add_co_ci_u32_e32 v16, vcc_lo, 0, v17, vcc_lo
	s_delay_alu instid0(VALU_DEP_2) | instskip(NEXT) | instid1(VALU_DEP_2)
	v_add_co_u32 v14, vcc_lo, v15, v14
	v_add_co_ci_u32_e32 v14, vcc_lo, v16, v19, vcc_lo
	v_add_co_ci_u32_e32 v15, vcc_lo, 0, v20, vcc_lo
	v_add_co_u32 v4, vcc_lo, v4, v18
	v_add_co_ci_u32_e32 v5, vcc_lo, v5, v18, vcc_lo
	s_delay_alu instid0(VALU_DEP_4) | instskip(NEXT) | instid1(VALU_DEP_4)
	v_add_co_u32 v13, vcc_lo, v14, v13
	v_add_co_ci_u32_e32 v14, vcc_lo, 0, v15, vcc_lo
	s_delay_alu instid0(VALU_DEP_4) | instskip(NEXT) | instid1(VALU_DEP_3)
	v_xor_b32_e32 v15, v4, v18
	v_add_co_u32 v13, vcc_lo, v6, v13
	s_delay_alu instid0(VALU_DEP_3) | instskip(SKIP_1) | instid1(VALU_DEP_3)
	v_add_co_ci_u32_e32 v16, vcc_lo, v7, v14, vcc_lo
	v_xor_b32_e32 v17, v5, v18
	v_mul_hi_u32 v19, v15, v13
	s_delay_alu instid0(VALU_DEP_3) | instskip(NEXT) | instid1(VALU_DEP_3)
	v_mad_u64_u32 v[4:5], null, v15, v16, 0
	v_mad_u64_u32 v[6:7], null, v17, v13, 0
	;; [unrolled: 1-line block ×3, first 2 shown]
	s_delay_alu instid0(VALU_DEP_3) | instskip(NEXT) | instid1(VALU_DEP_4)
	v_add_co_u32 v4, vcc_lo, v19, v4
	v_add_co_ci_u32_e32 v5, vcc_lo, 0, v5, vcc_lo
	s_delay_alu instid0(VALU_DEP_2) | instskip(NEXT) | instid1(VALU_DEP_2)
	v_add_co_u32 v4, vcc_lo, v4, v6
	v_add_co_ci_u32_e32 v4, vcc_lo, v5, v7, vcc_lo
	v_add_co_ci_u32_e32 v5, vcc_lo, 0, v14, vcc_lo
	s_delay_alu instid0(VALU_DEP_2) | instskip(NEXT) | instid1(VALU_DEP_2)
	v_add_co_u32 v6, vcc_lo, v4, v13
	v_add_co_ci_u32_e32 v13, vcc_lo, 0, v5, vcc_lo
	s_delay_alu instid0(VALU_DEP_2) | instskip(NEXT) | instid1(VALU_DEP_1)
	v_mad_u64_u32 v[4:5], null, s13, v6, 0
	v_mad_u64_u32 v[6:7], null, s13, v13, v[5:6]
	s_delay_alu instid0(VALU_DEP_2) | instskip(NEXT) | instid1(VALU_DEP_2)
	v_sub_co_u32 v4, vcc_lo, v15, v4
	v_sub_co_ci_u32_e32 v5, vcc_lo, v17, v6, vcc_lo
	s_delay_alu instid0(VALU_DEP_2) | instskip(NEXT) | instid1(VALU_DEP_2)
	v_sub_co_u32 v6, vcc_lo, v4, s13
	v_subrev_co_ci_u32_e32 v7, vcc_lo, 0, v5, vcc_lo
	s_delay_alu instid0(VALU_DEP_2) | instskip(SKIP_4) | instid1(VALU_DEP_4)
	v_cmp_le_u32_e32 vcc_lo, s13, v6
	v_cndmask_b32_e64 v13, 0, -1, vcc_lo
	v_cmp_le_u32_e32 vcc_lo, s13, v4
	v_cndmask_b32_e64 v14, 0, -1, vcc_lo
	v_cmp_eq_u32_e32 vcc_lo, 0, v7
	v_cndmask_b32_e32 v7, -1, v13, vcc_lo
	v_sub_co_u32 v13, vcc_lo, v6, s13
	v_cmp_eq_u32_e32 vcc_lo, 0, v5
	v_cndmask_b32_e32 v5, -1, v14, vcc_lo
	s_delay_alu instid0(VALU_DEP_4) | instskip(NEXT) | instid1(VALU_DEP_4)
	v_cmp_ne_u32_e32 vcc_lo, 0, v7
	v_cndmask_b32_e32 v6, v6, v13, vcc_lo
	s_delay_alu instid0(VALU_DEP_3) | instskip(NEXT) | instid1(VALU_DEP_2)
	v_cmp_ne_u32_e32 vcc_lo, 0, v5
	v_cndmask_b32_e32 v4, v4, v6, vcc_lo
	s_delay_alu instid0(VALU_DEP_1) | instskip(NEXT) | instid1(VALU_DEP_1)
	v_xor_b32_e32 v4, v4, v18
	v_sub_co_u32 v6, vcc_lo, v4, v18
                                        ; implicit-def: $vgpr4_vgpr5
	s_and_not1_saveexec_b32 s0, s0
	s_cbranch_execz .LBB6_24
.LBB6_28:                               ;   in Loop: Header=BB6_19 Depth=1
	v_cvt_f32_u32_e32 v5, s13
	s_delay_alu instid0(VALU_DEP_1) | instskip(SKIP_2) | instid1(VALU_DEP_1)
	v_rcp_iflag_f32_e32 v5, v5
	s_waitcnt_depctr 0xfff
	v_mul_f32_e32 v5, 0x4f7ffffe, v5
	v_cvt_u32_f32_e32 v5, v5
	s_delay_alu instid0(VALU_DEP_1) | instskip(NEXT) | instid1(VALU_DEP_1)
	v_mul_lo_u32 v6, s26, v5
	v_mul_hi_u32 v6, v5, v6
	s_delay_alu instid0(VALU_DEP_1) | instskip(NEXT) | instid1(VALU_DEP_1)
	v_add_nc_u32_e32 v5, v5, v6
	v_mul_hi_u32 v5, v4, v5
	s_delay_alu instid0(VALU_DEP_1) | instskip(NEXT) | instid1(VALU_DEP_1)
	v_mul_lo_u32 v5, v5, s13
	v_sub_nc_u32_e32 v4, v4, v5
	s_delay_alu instid0(VALU_DEP_1) | instskip(SKIP_1) | instid1(VALU_DEP_2)
	v_subrev_nc_u32_e32 v5, s13, v4
	v_cmp_le_u32_e32 vcc_lo, s13, v4
	v_cndmask_b32_e32 v4, v4, v5, vcc_lo
	s_delay_alu instid0(VALU_DEP_1) | instskip(SKIP_1) | instid1(VALU_DEP_2)
	v_subrev_nc_u32_e32 v5, s13, v4
	v_cmp_le_u32_e32 vcc_lo, s13, v4
	v_cndmask_b32_e32 v6, v4, v5, vcc_lo
	s_or_b32 exec_lo, exec_lo, s0
	s_delay_alu instid0(SALU_CYCLE_1)
	s_and_not1_b32 vcc_lo, exec_lo, s14
	s_cbranch_vccz .LBB6_25
.LBB6_29:                               ;   in Loop: Header=BB6_19 Depth=1
	v_mov_b32_e32 v13, 1.0
	s_and_not1_b32 vcc_lo, exec_lo, s20
	s_cbranch_vccz .LBB6_26
.LBB6_30:                               ;   in Loop: Header=BB6_19 Depth=1
	v_mov_b32_e32 v6, 0
.LBB6_31:                               ;   in Loop: Header=BB6_19 Depth=1
	v_lshlrev_b64 v[4:5], 1, v[2:3]
	s_delay_alu instid0(VALU_DEP_1) | instskip(NEXT) | instid1(VALU_DEP_2)
	v_add_co_u32 v14, vcc_lo, s4, v4
	v_add_co_ci_u32_e32 v15, vcc_lo, s5, v5, vcc_lo
	global_load_u16 v2, v[14:15], off
	s_waitcnt vmcnt(0)
	v_lshlrev_b32_e32 v2, 16, v2
	s_delay_alu instid0(VALU_DEP_1) | instskip(NEXT) | instid1(VALU_DEP_1)
	v_sub_f32_e32 v2, v2, v8
	v_mul_f32_e32 v2, v2, v9
	s_delay_alu instid0(VALU_DEP_1) | instskip(NEXT) | instid1(VALU_DEP_1)
	v_fmac_f32_e32 v6, v13, v2
	v_and_b32_e32 v2, 0x7f800000, v6
	s_delay_alu instid0(VALU_DEP_1) | instskip(SKIP_1) | instid1(SALU_CYCLE_1)
	v_cmp_ne_u32_e32 vcc_lo, 0x7f800000, v2
                                        ; implicit-def: $vgpr2
	s_and_saveexec_b32 s0, vcc_lo
	s_xor_b32 s0, exec_lo, s0
; %bb.32:                               ;   in Loop: Header=BB6_19 Depth=1
	v_bfe_u32 v2, v6, 16, 1
	s_delay_alu instid0(VALU_DEP_1)
	v_add3_u32 v2, v6, v2, 0x7fff
                                        ; implicit-def: $vgpr6
; %bb.33:                               ;   in Loop: Header=BB6_19 Depth=1
	s_and_not1_saveexec_b32 s0, s0
	s_cbranch_execz .LBB6_18
; %bb.34:                               ;   in Loop: Header=BB6_19 Depth=1
	v_and_b32_e32 v2, 0xffff, v6
	v_or_b32_e32 v7, 0x10000, v6
	s_delay_alu instid0(VALU_DEP_2) | instskip(NEXT) | instid1(VALU_DEP_2)
	v_cmp_eq_u32_e32 vcc_lo, 0, v2
	v_cndmask_b32_e32 v2, v7, v6, vcc_lo
	s_branch .LBB6_18
.LBB6_35:                               ;   in Loop: Header=BB6_19 Depth=1
                                        ; implicit-def: $vgpr4_vgpr5
	s_branch .LBB6_21
.LBB6_36:
	ds_load_b32 v1, v9
	s_or_b32 exec_lo, exec_lo, s2
	s_and_saveexec_b32 s2, vcc_lo
	s_cbranch_execz .LBB6_11
.LBB6_37:
	ds_load_b32 v2, v9 offset:4
	s_or_b32 exec_lo, exec_lo, s2
	s_and_saveexec_b32 s2, vcc_lo
	s_cbranch_execnz .LBB6_12
	s_branch .LBB6_13
.LBB6_38:
	s_or_b32 exec_lo, exec_lo, s1
	s_mov_b32 s0, 0
.LBB6_39:
	s_delay_alu instid0(SALU_CYCLE_1)
	s_and_not1_b32 vcc_lo, exec_lo, s0
	s_cbranch_vccnz .LBB6_71
; %bb.40:
	s_delay_alu instid0(VALU_DEP_1) | instskip(SKIP_1) | instid1(VALU_DEP_1)
	v_lshlrev_b32_e32 v10, 2, v1
	s_mov_b32 s0, exec_lo
	v_cmpx_gt_u32_e64 s12, v10
	s_cbranch_execz .LBB6_71
; %bb.41:
	v_cvt_f32_u32_e32 v0, s18
	v_cvt_f32_ubyte0_e32 v1, 0
	v_cvt_f32_u32_e32 v2, s13
	s_cmp_lg_u64 s[6:7], 0
	s_mov_b32 s2, 0
	v_rcp_iflag_f32_e32 v0, v0
	s_cselect_b32 s1, -1, 0
	v_fmac_f32_e32 v2, 0x4f800000, v1
	s_cmp_lg_u64 s[8:9], 0
	s_mul_i32 s17, s15, s12
	s_cselect_b32 s16, -1, 0
	s_sub_i32 s0, 0, s18
	v_rcp_f32_e32 v1, v2
	s_mov_b32 s3, s19
	s_lshl_b32 s20, s24, 12
	s_waitcnt_depctr 0xfff
	v_dual_mul_f32 v0, 0x4f7ffffe, v0 :: v_dual_mov_b32 v15, 0
	s_ashr_i32 s10, s19, 31
	s_sub_i32 s21, 0, s13
	s_mov_b32 s24, s2
	s_delay_alu instid0(VALU_DEP_1) | instskip(SKIP_2) | instid1(VALU_DEP_3)
	v_cvt_u32_f32_e32 v0, v0
	v_mov_b32_e32 v14, 1.0
	v_mul_f32_e32 v2, 0x5f7ffffc, v1
	v_mul_lo_u32 v1, s0, v0
	s_delay_alu instid0(VALU_DEP_1) | instskip(SKIP_1) | instid1(VALU_DEP_2)
	v_mul_hi_u32 v4, v0, v1
	v_mov_b32_e32 v1, 0
	v_add_nc_u32_e32 v13, v0, v4
	v_mul_f32_e32 v3, 0x2f800000, v2
	s_delay_alu instid0(VALU_DEP_1) | instskip(NEXT) | instid1(VALU_DEP_1)
	v_trunc_f32_e32 v3, v3
	v_fmac_f32_e32 v2, 0xcf800000, v3
	v_cvt_u32_f32_e32 v11, v3
	s_delay_alu instid0(VALU_DEP_2)
	v_cvt_u32_f32_e32 v12, v2
	s_branch .LBB6_43
.LBB6_42:                               ;   in Loop: Header=BB6_43 Depth=1
	s_or_b32 exec_lo, exec_lo, s0
	v_add_nc_u32_e32 v10, s20, v10
	v_lshrrev_b32_e32 v4, 16, v4
	v_lshrrev_b32_e32 v0, 16, v0
	v_and_b32_e32 v5, 0xffff0000, v5
	v_add_co_u32 v2, vcc_lo, s22, v2
	v_add_co_ci_u32_e32 v3, vcc_lo, s23, v3, vcc_lo
	v_cmp_le_u32_e32 vcc_lo, s12, v10
	s_delay_alu instid0(VALU_DEP_4)
	v_or_b32_e32 v5, v5, v4
	v_and_or_b32 v4, 0xffff0000, v6, v0
	s_or_b32 s24, vcc_lo, s24
	global_store_b64 v[2:3], v[4:5], off
	s_and_not1_b32 exec_lo, exec_lo, s24
	s_cbranch_execz .LBB6_71
.LBB6_43:                               ; =>This Inner Loop Header: Depth=1
	v_add_nc_u32_e32 v0, s17, v10
	s_cmp_lg_u64 s[2:3], 0
	s_cbranch_scc0 .LBB6_70
; %bb.44:                               ;   in Loop: Header=BB6_43 Depth=1
	s_add_u32 s14, s18, s10
	s_mov_b32 s11, s10
	s_addc_u32 s15, s19, s10
	s_delay_alu instid0(SALU_CYCLE_1) | instskip(NEXT) | instid1(SALU_CYCLE_1)
	s_xor_b64 s[14:15], s[14:15], s[10:11]
	v_cvt_f32_u32_e32 v2, s14
	v_cvt_f32_u32_e32 v3, s15
	s_sub_u32 s0, 0, s14
	s_subb_u32 s11, 0, s15
	s_delay_alu instid0(VALU_DEP_1) | instskip(NEXT) | instid1(VALU_DEP_1)
	v_fmac_f32_e32 v2, 0x4f800000, v3
	v_rcp_f32_e32 v2, v2
	s_waitcnt_depctr 0xfff
	v_mul_f32_e32 v2, 0x5f7ffffc, v2
	s_delay_alu instid0(VALU_DEP_1) | instskip(NEXT) | instid1(VALU_DEP_1)
	v_mul_f32_e32 v3, 0x2f800000, v2
	v_trunc_f32_e32 v3, v3
	s_delay_alu instid0(VALU_DEP_1) | instskip(SKIP_1) | instid1(VALU_DEP_2)
	v_fmac_f32_e32 v2, 0xcf800000, v3
	v_cvt_u32_f32_e32 v3, v3
	v_cvt_u32_f32_e32 v2, v2
	s_delay_alu instid0(VALU_DEP_2) | instskip(NEXT) | instid1(VALU_DEP_2)
	v_mul_lo_u32 v4, s0, v3
	v_mul_hi_u32 v5, s0, v2
	v_mul_lo_u32 v6, s11, v2
	s_delay_alu instid0(VALU_DEP_2) | instskip(SKIP_1) | instid1(VALU_DEP_2)
	v_add_nc_u32_e32 v4, v5, v4
	v_mul_lo_u32 v5, s0, v2
	v_add_nc_u32_e32 v4, v4, v6
	s_delay_alu instid0(VALU_DEP_2) | instskip(NEXT) | instid1(VALU_DEP_2)
	v_mul_hi_u32 v6, v2, v5
	v_mul_lo_u32 v7, v2, v4
	v_mul_hi_u32 v16, v2, v4
	v_mul_hi_u32 v17, v3, v5
	v_mul_lo_u32 v5, v3, v5
	v_mul_hi_u32 v18, v3, v4
	v_mul_lo_u32 v4, v3, v4
	v_add_co_u32 v6, vcc_lo, v6, v7
	v_add_co_ci_u32_e32 v7, vcc_lo, 0, v16, vcc_lo
	s_delay_alu instid0(VALU_DEP_2) | instskip(NEXT) | instid1(VALU_DEP_2)
	v_add_co_u32 v5, vcc_lo, v6, v5
	v_add_co_ci_u32_e32 v5, vcc_lo, v7, v17, vcc_lo
	v_add_co_ci_u32_e32 v6, vcc_lo, 0, v18, vcc_lo
	s_delay_alu instid0(VALU_DEP_2) | instskip(NEXT) | instid1(VALU_DEP_2)
	v_add_co_u32 v4, vcc_lo, v5, v4
	v_add_co_ci_u32_e32 v5, vcc_lo, 0, v6, vcc_lo
	s_delay_alu instid0(VALU_DEP_2) | instskip(NEXT) | instid1(VALU_DEP_2)
	v_add_co_u32 v2, vcc_lo, v2, v4
	v_add_co_ci_u32_e32 v3, vcc_lo, v3, v5, vcc_lo
	s_delay_alu instid0(VALU_DEP_2) | instskip(SKIP_1) | instid1(VALU_DEP_3)
	v_mul_hi_u32 v4, s0, v2
	v_mul_lo_u32 v6, s11, v2
	v_mul_lo_u32 v5, s0, v3
	s_delay_alu instid0(VALU_DEP_1) | instskip(SKIP_1) | instid1(VALU_DEP_2)
	v_add_nc_u32_e32 v4, v4, v5
	v_mul_lo_u32 v5, s0, v2
	v_add_nc_u32_e32 v4, v4, v6
	s_delay_alu instid0(VALU_DEP_2) | instskip(NEXT) | instid1(VALU_DEP_2)
	v_mul_hi_u32 v6, v2, v5
	v_mul_lo_u32 v7, v2, v4
	v_mul_hi_u32 v16, v2, v4
	v_mul_hi_u32 v17, v3, v5
	v_mul_lo_u32 v5, v3, v5
	v_mul_hi_u32 v18, v3, v4
	v_mul_lo_u32 v4, v3, v4
	v_add_co_u32 v6, vcc_lo, v6, v7
	v_add_co_ci_u32_e32 v7, vcc_lo, 0, v16, vcc_lo
	s_delay_alu instid0(VALU_DEP_2) | instskip(NEXT) | instid1(VALU_DEP_2)
	v_add_co_u32 v5, vcc_lo, v6, v5
	v_add_co_ci_u32_e32 v5, vcc_lo, v7, v17, vcc_lo
	v_add_co_ci_u32_e32 v6, vcc_lo, 0, v18, vcc_lo
	s_delay_alu instid0(VALU_DEP_2) | instskip(NEXT) | instid1(VALU_DEP_2)
	v_add_co_u32 v4, vcc_lo, v5, v4
	v_add_co_ci_u32_e32 v5, vcc_lo, 0, v6, vcc_lo
	s_delay_alu instid0(VALU_DEP_2) | instskip(NEXT) | instid1(VALU_DEP_2)
	v_add_co_u32 v6, vcc_lo, v2, v4
	v_add_co_ci_u32_e32 v16, vcc_lo, v3, v5, vcc_lo
	s_delay_alu instid0(VALU_DEP_2) | instskip(SKIP_1) | instid1(VALU_DEP_3)
	v_mul_hi_u32 v17, v0, v6
	v_mad_u64_u32 v[4:5], null, 0, v6, 0
	v_mad_u64_u32 v[2:3], null, v0, v16, 0
	v_mad_u64_u32 v[6:7], null, 0, v16, 0
	s_delay_alu instid0(VALU_DEP_2) | instskip(NEXT) | instid1(VALU_DEP_3)
	v_add_co_u32 v2, vcc_lo, v17, v2
	v_add_co_ci_u32_e32 v3, vcc_lo, 0, v3, vcc_lo
	s_delay_alu instid0(VALU_DEP_2) | instskip(NEXT) | instid1(VALU_DEP_2)
	v_add_co_u32 v2, vcc_lo, v2, v4
	v_add_co_ci_u32_e32 v2, vcc_lo, v3, v5, vcc_lo
	v_add_co_ci_u32_e32 v3, vcc_lo, 0, v7, vcc_lo
	s_delay_alu instid0(VALU_DEP_2) | instskip(NEXT) | instid1(VALU_DEP_2)
	v_add_co_u32 v4, vcc_lo, v2, v6
	v_add_co_ci_u32_e32 v5, vcc_lo, 0, v3, vcc_lo
	s_delay_alu instid0(VALU_DEP_2) | instskip(SKIP_1) | instid1(VALU_DEP_3)
	v_mul_lo_u32 v6, s15, v4
	v_mad_u64_u32 v[2:3], null, s14, v4, 0
	v_mul_lo_u32 v7, s14, v5
	s_delay_alu instid0(VALU_DEP_2) | instskip(NEXT) | instid1(VALU_DEP_2)
	v_sub_co_u32 v2, vcc_lo, v0, v2
	v_add3_u32 v3, v3, v7, v6
	s_delay_alu instid0(VALU_DEP_1) | instskip(NEXT) | instid1(VALU_DEP_1)
	v_sub_nc_u32_e32 v6, 0, v3
	v_subrev_co_ci_u32_e64 v6, s0, s15, v6, vcc_lo
	v_add_co_u32 v7, s0, v4, 2
	s_delay_alu instid0(VALU_DEP_1) | instskip(SKIP_3) | instid1(VALU_DEP_3)
	v_add_co_ci_u32_e64 v16, s0, 0, v5, s0
	v_sub_co_u32 v17, s0, v2, s14
	v_sub_co_ci_u32_e32 v3, vcc_lo, 0, v3, vcc_lo
	v_subrev_co_ci_u32_e64 v6, s0, 0, v6, s0
	v_cmp_le_u32_e32 vcc_lo, s14, v17
	s_delay_alu instid0(VALU_DEP_3) | instskip(SKIP_1) | instid1(VALU_DEP_4)
	v_cmp_eq_u32_e64 s0, s15, v3
	v_cndmask_b32_e64 v17, 0, -1, vcc_lo
	v_cmp_le_u32_e32 vcc_lo, s15, v6
	v_cndmask_b32_e64 v18, 0, -1, vcc_lo
	v_cmp_le_u32_e32 vcc_lo, s14, v2
	;; [unrolled: 2-line block ×3, first 2 shown]
	v_cndmask_b32_e64 v19, 0, -1, vcc_lo
	v_cmp_eq_u32_e32 vcc_lo, s15, v6
	s_delay_alu instid0(VALU_DEP_2) | instskip(SKIP_3) | instid1(VALU_DEP_3)
	v_cndmask_b32_e64 v2, v19, v2, s0
	v_cndmask_b32_e32 v6, v18, v17, vcc_lo
	v_add_co_u32 v17, vcc_lo, v4, 1
	v_add_co_ci_u32_e32 v18, vcc_lo, 0, v5, vcc_lo
	v_cmp_ne_u32_e32 vcc_lo, 0, v6
	s_delay_alu instid0(VALU_DEP_2) | instskip(SKIP_1) | instid1(VALU_DEP_2)
	v_dual_cndmask_b32 v3, v18, v16 :: v_dual_cndmask_b32 v6, v17, v7
	v_cmp_ne_u32_e32 vcc_lo, 0, v2
	v_dual_cndmask_b32 v2, v5, v3 :: v_dual_cndmask_b32 v3, v4, v6
	s_delay_alu instid0(VALU_DEP_1) | instskip(NEXT) | instid1(VALU_DEP_2)
	v_xor_b32_e32 v4, s10, v2
	v_xor_b32_e32 v3, s10, v3
	s_delay_alu instid0(VALU_DEP_1) | instskip(NEXT) | instid1(VALU_DEP_3)
	v_sub_co_u32 v2, vcc_lo, v3, s10
	v_subrev_co_ci_u32_e32 v3, vcc_lo, s10, v4, vcc_lo
	s_cbranch_execnz .LBB6_46
.LBB6_45:                               ;   in Loop: Header=BB6_43 Depth=1
	s_delay_alu instid0(VALU_DEP_1) | instskip(NEXT) | instid1(VALU_DEP_1)
	v_mul_hi_u32 v2, v0, v13
	v_mul_lo_u32 v3, v2, s18
	s_delay_alu instid0(VALU_DEP_1) | instskip(NEXT) | instid1(VALU_DEP_1)
	v_sub_nc_u32_e32 v3, v0, v3
	v_subrev_nc_u32_e32 v5, s18, v3
	v_cmp_le_u32_e32 vcc_lo, s18, v3
	s_delay_alu instid0(VALU_DEP_2) | instskip(NEXT) | instid1(VALU_DEP_1)
	v_dual_cndmask_b32 v3, v3, v5 :: v_dual_add_nc_u32 v4, 1, v2
	v_cndmask_b32_e32 v2, v2, v4, vcc_lo
	s_delay_alu instid0(VALU_DEP_2) | instskip(NEXT) | instid1(VALU_DEP_2)
	v_cmp_le_u32_e32 vcc_lo, s18, v3
	v_dual_mov_b32 v3, v1 :: v_dual_add_nc_u32 v4, 1, v2
	s_delay_alu instid0(VALU_DEP_1)
	v_cndmask_b32_e32 v2, v2, v4, vcc_lo
.LBB6_46:                               ;   in Loop: Header=BB6_43 Depth=1
	s_delay_alu instid0(VALU_DEP_1) | instskip(SKIP_1) | instid1(VALU_DEP_1)
	v_dual_mov_b32 v4, v1 :: v_dual_mov_b32 v5, v3
	s_mov_b32 s0, exec_lo
                                        ; implicit-def: $vgpr6_vgpr7
	v_cmpx_ne_u64_e32 0, v[4:5]
	s_xor_b32 s0, exec_lo, s0
	s_cbranch_execz .LBB6_48
; %bb.47:                               ;   in Loop: Header=BB6_43 Depth=1
	s_sub_u32 s11, 0, s13
	s_subb_u32 s14, 0, 0
	v_mul_hi_u32 v4, s11, v12
	v_mul_lo_u32 v5, s11, v11
	v_mul_lo_u32 v6, s14, v12
	v_ashrrev_i32_e32 v19, 31, v3
	s_delay_alu instid0(VALU_DEP_3) | instskip(SKIP_1) | instid1(VALU_DEP_2)
	v_add_nc_u32_e32 v4, v4, v5
	v_mul_lo_u32 v5, s11, v12
	v_add_nc_u32_e32 v4, v4, v6
	s_delay_alu instid0(VALU_DEP_2) | instskip(NEXT) | instid1(VALU_DEP_2)
	v_mul_hi_u32 v6, v12, v5
	v_mul_lo_u32 v7, v12, v4
	v_mul_hi_u32 v16, v12, v4
	v_mul_hi_u32 v17, v11, v5
	v_mul_lo_u32 v5, v11, v5
	v_mul_hi_u32 v18, v11, v4
	v_mul_lo_u32 v4, v11, v4
	v_add_co_u32 v6, vcc_lo, v6, v7
	v_add_co_ci_u32_e32 v7, vcc_lo, 0, v16, vcc_lo
	s_delay_alu instid0(VALU_DEP_2) | instskip(NEXT) | instid1(VALU_DEP_2)
	v_add_co_u32 v5, vcc_lo, v6, v5
	v_add_co_ci_u32_e32 v5, vcc_lo, v7, v17, vcc_lo
	v_add_co_ci_u32_e32 v6, vcc_lo, 0, v18, vcc_lo
	s_delay_alu instid0(VALU_DEP_2) | instskip(NEXT) | instid1(VALU_DEP_2)
	v_add_co_u32 v4, vcc_lo, v5, v4
	v_add_co_ci_u32_e32 v5, vcc_lo, 0, v6, vcc_lo
	s_delay_alu instid0(VALU_DEP_2) | instskip(NEXT) | instid1(VALU_DEP_2)
	v_add_co_u32 v4, vcc_lo, v12, v4
	v_add_co_ci_u32_e32 v5, vcc_lo, v11, v5, vcc_lo
	s_delay_alu instid0(VALU_DEP_2) | instskip(SKIP_1) | instid1(VALU_DEP_3)
	v_mul_hi_u32 v6, s11, v4
	v_mul_lo_u32 v16, s14, v4
	v_mul_lo_u32 v7, s11, v5
	s_delay_alu instid0(VALU_DEP_1) | instskip(SKIP_1) | instid1(VALU_DEP_2)
	v_add_nc_u32_e32 v6, v6, v7
	v_mul_lo_u32 v7, s11, v4
	v_add_nc_u32_e32 v6, v6, v16
	s_delay_alu instid0(VALU_DEP_2) | instskip(NEXT) | instid1(VALU_DEP_2)
	v_mul_hi_u32 v16, v4, v7
	v_mul_lo_u32 v17, v4, v6
	v_mul_hi_u32 v18, v4, v6
	v_mul_hi_u32 v20, v5, v7
	v_mul_lo_u32 v7, v5, v7
	v_mul_hi_u32 v21, v5, v6
	v_mul_lo_u32 v6, v5, v6
	v_add_co_u32 v16, vcc_lo, v16, v17
	v_add_co_ci_u32_e32 v17, vcc_lo, 0, v18, vcc_lo
	s_delay_alu instid0(VALU_DEP_2) | instskip(NEXT) | instid1(VALU_DEP_2)
	v_add_co_u32 v7, vcc_lo, v16, v7
	v_add_co_ci_u32_e32 v7, vcc_lo, v17, v20, vcc_lo
	v_add_co_ci_u32_e32 v16, vcc_lo, 0, v21, vcc_lo
	v_add_co_u32 v2, vcc_lo, v2, v19
	v_add_co_ci_u32_e32 v3, vcc_lo, v3, v19, vcc_lo
	s_delay_alu instid0(VALU_DEP_4) | instskip(NEXT) | instid1(VALU_DEP_4)
	v_add_co_u32 v6, vcc_lo, v7, v6
	v_add_co_ci_u32_e32 v7, vcc_lo, 0, v16, vcc_lo
	s_delay_alu instid0(VALU_DEP_4) | instskip(NEXT) | instid1(VALU_DEP_3)
	v_xor_b32_e32 v16, v2, v19
	v_add_co_u32 v6, vcc_lo, v4, v6
	s_delay_alu instid0(VALU_DEP_3) | instskip(SKIP_1) | instid1(VALU_DEP_3)
	v_add_co_ci_u32_e32 v17, vcc_lo, v5, v7, vcc_lo
	v_xor_b32_e32 v18, v3, v19
	v_mul_hi_u32 v20, v16, v6
	s_delay_alu instid0(VALU_DEP_3) | instskip(NEXT) | instid1(VALU_DEP_3)
	v_mad_u64_u32 v[2:3], null, v16, v17, 0
	v_mad_u64_u32 v[4:5], null, v18, v6, 0
	;; [unrolled: 1-line block ×3, first 2 shown]
	s_delay_alu instid0(VALU_DEP_3) | instskip(NEXT) | instid1(VALU_DEP_4)
	v_add_co_u32 v2, vcc_lo, v20, v2
	v_add_co_ci_u32_e32 v3, vcc_lo, 0, v3, vcc_lo
	s_delay_alu instid0(VALU_DEP_2) | instskip(NEXT) | instid1(VALU_DEP_2)
	v_add_co_u32 v2, vcc_lo, v2, v4
	v_add_co_ci_u32_e32 v2, vcc_lo, v3, v5, vcc_lo
	v_add_co_ci_u32_e32 v3, vcc_lo, 0, v7, vcc_lo
	s_delay_alu instid0(VALU_DEP_2) | instskip(NEXT) | instid1(VALU_DEP_2)
	v_add_co_u32 v4, vcc_lo, v2, v6
	v_add_co_ci_u32_e32 v6, vcc_lo, 0, v3, vcc_lo
	s_delay_alu instid0(VALU_DEP_2) | instskip(NEXT) | instid1(VALU_DEP_1)
	v_mad_u64_u32 v[2:3], null, s13, v4, 0
	v_mad_u64_u32 v[4:5], null, s13, v6, v[3:4]
	s_delay_alu instid0(VALU_DEP_2) | instskip(NEXT) | instid1(VALU_DEP_2)
	v_sub_co_u32 v2, vcc_lo, v16, v2
	v_sub_co_ci_u32_e32 v3, vcc_lo, v18, v4, vcc_lo
	s_delay_alu instid0(VALU_DEP_2) | instskip(NEXT) | instid1(VALU_DEP_2)
	v_sub_co_u32 v4, vcc_lo, v2, s13
	v_subrev_co_ci_u32_e32 v5, vcc_lo, 0, v3, vcc_lo
	s_delay_alu instid0(VALU_DEP_2) | instskip(SKIP_4) | instid1(VALU_DEP_4)
	v_cmp_le_u32_e32 vcc_lo, s13, v4
	v_cndmask_b32_e64 v6, 0, -1, vcc_lo
	v_cmp_le_u32_e32 vcc_lo, s13, v2
	v_cndmask_b32_e64 v7, 0, -1, vcc_lo
	v_cmp_eq_u32_e32 vcc_lo, 0, v5
	v_cndmask_b32_e32 v5, -1, v6, vcc_lo
	v_sub_co_u32 v6, vcc_lo, v4, s13
	v_cmp_eq_u32_e32 vcc_lo, 0, v3
	v_cndmask_b32_e32 v3, -1, v7, vcc_lo
	s_delay_alu instid0(VALU_DEP_4) | instskip(NEXT) | instid1(VALU_DEP_4)
	v_cmp_ne_u32_e32 vcc_lo, 0, v5
	v_cndmask_b32_e32 v4, v4, v6, vcc_lo
	s_delay_alu instid0(VALU_DEP_3) | instskip(NEXT) | instid1(VALU_DEP_2)
	v_cmp_ne_u32_e32 vcc_lo, 0, v3
	v_cndmask_b32_e32 v2, v2, v4, vcc_lo
	s_delay_alu instid0(VALU_DEP_1) | instskip(NEXT) | instid1(VALU_DEP_1)
	v_xor_b32_e32 v2, v2, v19
	v_sub_co_u32 v6, vcc_lo, v2, v19
                                        ; implicit-def: $vgpr2_vgpr3
.LBB6_48:                               ;   in Loop: Header=BB6_43 Depth=1
	s_and_not1_saveexec_b32 s0, s0
	s_cbranch_execz .LBB6_50
; %bb.49:                               ;   in Loop: Header=BB6_43 Depth=1
	v_cvt_f32_u32_e32 v3, s13
	s_delay_alu instid0(VALU_DEP_1) | instskip(SKIP_2) | instid1(VALU_DEP_1)
	v_rcp_iflag_f32_e32 v3, v3
	s_waitcnt_depctr 0xfff
	v_mul_f32_e32 v3, 0x4f7ffffe, v3
	v_cvt_u32_f32_e32 v3, v3
	s_delay_alu instid0(VALU_DEP_1) | instskip(NEXT) | instid1(VALU_DEP_1)
	v_mul_lo_u32 v4, s21, v3
	v_mul_hi_u32 v4, v3, v4
	s_delay_alu instid0(VALU_DEP_1) | instskip(NEXT) | instid1(VALU_DEP_1)
	v_add_nc_u32_e32 v3, v3, v4
	v_mul_hi_u32 v3, v2, v3
	s_delay_alu instid0(VALU_DEP_1) | instskip(NEXT) | instid1(VALU_DEP_1)
	v_mul_lo_u32 v3, v3, s13
	v_sub_nc_u32_e32 v2, v2, v3
	s_delay_alu instid0(VALU_DEP_1) | instskip(SKIP_1) | instid1(VALU_DEP_2)
	v_subrev_nc_u32_e32 v3, s13, v2
	v_cmp_le_u32_e32 vcc_lo, s13, v2
	v_cndmask_b32_e32 v2, v2, v3, vcc_lo
	s_delay_alu instid0(VALU_DEP_1) | instskip(SKIP_1) | instid1(VALU_DEP_2)
	v_subrev_nc_u32_e32 v3, s13, v2
	v_cmp_le_u32_e32 vcc_lo, s13, v2
	v_cndmask_b32_e32 v6, v2, v3, vcc_lo
.LBB6_50:                               ;   in Loop: Header=BB6_43 Depth=1
	s_or_b32 exec_lo, exec_lo, s0
	v_lshlrev_b64 v[2:3], 1, v[0:1]
	s_delay_alu instid0(VALU_DEP_1) | instskip(NEXT) | instid1(VALU_DEP_2)
	v_add_co_u32 v4, vcc_lo, s4, v2
	v_add_co_ci_u32_e32 v5, vcc_lo, s5, v3, vcc_lo
	s_and_not1_b32 vcc_lo, exec_lo, s1
	global_load_b64 v[4:5], v[4:5], off
	s_cbranch_vccnz .LBB6_52
; %bb.51:                               ;   in Loop: Header=BB6_43 Depth=1
	v_mov_b32_e32 v7, v1
	s_delay_alu instid0(VALU_DEP_1) | instskip(NEXT) | instid1(VALU_DEP_1)
	v_lshlrev_b64 v[16:17], 1, v[6:7]
	v_add_co_u32 v16, vcc_lo, s6, v16
	s_delay_alu instid0(VALU_DEP_2)
	v_add_co_ci_u32_e32 v17, vcc_lo, s7, v17, vcc_lo
	global_load_u16 v0, v[16:17], off
	s_waitcnt vmcnt(0)
	v_lshlrev_b32_e32 v14, 16, v0
.LBB6_52:                               ;   in Loop: Header=BB6_43 Depth=1
	s_and_not1_b32 vcc_lo, exec_lo, s16
	s_cbranch_vccnz .LBB6_54
; %bb.53:                               ;   in Loop: Header=BB6_43 Depth=1
	v_mov_b32_e32 v7, v1
	s_delay_alu instid0(VALU_DEP_1) | instskip(NEXT) | instid1(VALU_DEP_1)
	v_lshlrev_b64 v[6:7], 1, v[6:7]
	v_add_co_u32 v6, vcc_lo, s8, v6
	s_delay_alu instid0(VALU_DEP_2)
	v_add_co_ci_u32_e32 v7, vcc_lo, s9, v7, vcc_lo
	global_load_u16 v0, v[6:7], off
	s_waitcnt vmcnt(0)
	v_lshlrev_b32_e32 v15, 16, v0
.LBB6_54:                               ;   in Loop: Header=BB6_43 Depth=1
	s_waitcnt vmcnt(0)
	v_lshlrev_b32_e32 v0, 16, v4
	s_delay_alu instid0(VALU_DEP_1) | instskip(NEXT) | instid1(VALU_DEP_1)
	v_sub_f32_e32 v0, v0, v8
	v_mul_f32_e32 v0, v0, v9
	s_delay_alu instid0(VALU_DEP_1) | instskip(NEXT) | instid1(VALU_DEP_1)
	v_fma_f32 v6, v0, v14, v15
	v_and_b32_e32 v0, 0x7f800000, v6
	s_delay_alu instid0(VALU_DEP_1) | instskip(SKIP_1) | instid1(SALU_CYCLE_1)
	v_cmp_ne_u32_e32 vcc_lo, 0x7f800000, v0
                                        ; implicit-def: $vgpr0
	s_and_saveexec_b32 s0, vcc_lo
	s_xor_b32 s0, exec_lo, s0
; %bb.55:                               ;   in Loop: Header=BB6_43 Depth=1
	v_bfe_u32 v0, v6, 16, 1
	s_delay_alu instid0(VALU_DEP_1)
	v_add3_u32 v0, v6, v0, 0x7fff
                                        ; implicit-def: $vgpr6
; %bb.56:                               ;   in Loop: Header=BB6_43 Depth=1
	s_and_not1_saveexec_b32 s0, s0
; %bb.57:                               ;   in Loop: Header=BB6_43 Depth=1
	v_and_b32_e32 v0, 0xffff, v6
	v_or_b32_e32 v7, 0x10000, v6
	s_delay_alu instid0(VALU_DEP_2) | instskip(NEXT) | instid1(VALU_DEP_2)
	v_cmp_eq_u32_e32 vcc_lo, 0, v0
	v_cndmask_b32_e32 v0, v7, v6, vcc_lo
; %bb.58:                               ;   in Loop: Header=BB6_43 Depth=1
	s_or_b32 exec_lo, exec_lo, s0
	v_and_b32_e32 v6, 0xffff0000, v4
	s_delay_alu instid0(VALU_DEP_1) | instskip(NEXT) | instid1(VALU_DEP_1)
	v_sub_f32_e32 v6, v6, v8
	v_mul_f32_e32 v6, v6, v9
	s_delay_alu instid0(VALU_DEP_1) | instskip(NEXT) | instid1(VALU_DEP_1)
	v_fma_f32 v7, v6, v14, v15
	v_and_b32_e32 v6, 0x7f800000, v7
	s_delay_alu instid0(VALU_DEP_1) | instskip(SKIP_1) | instid1(SALU_CYCLE_1)
	v_cmp_ne_u32_e32 vcc_lo, 0x7f800000, v6
                                        ; implicit-def: $vgpr6
	s_and_saveexec_b32 s0, vcc_lo
	s_xor_b32 s0, exec_lo, s0
; %bb.59:                               ;   in Loop: Header=BB6_43 Depth=1
	v_bfe_u32 v6, v7, 16, 1
	s_delay_alu instid0(VALU_DEP_1)
	v_add3_u32 v6, v7, v6, 0x7fff
                                        ; implicit-def: $vgpr7
; %bb.60:                               ;   in Loop: Header=BB6_43 Depth=1
	s_and_not1_saveexec_b32 s0, s0
; %bb.61:                               ;   in Loop: Header=BB6_43 Depth=1
	v_and_b32_e32 v6, 0xffff, v7
	v_or_b32_e32 v16, 0x10000, v7
	s_delay_alu instid0(VALU_DEP_2) | instskip(NEXT) | instid1(VALU_DEP_2)
	v_cmp_eq_u32_e32 vcc_lo, 0, v6
	v_cndmask_b32_e32 v6, v16, v7, vcc_lo
; %bb.62:                               ;   in Loop: Header=BB6_43 Depth=1
	s_or_b32 exec_lo, exec_lo, s0
	v_alignbit_b32 v4, v5, v4, 16
	s_delay_alu instid0(VALU_DEP_1) | instskip(NEXT) | instid1(VALU_DEP_1)
	v_and_b32_e32 v4, 0xffff0000, v4
	v_sub_f32_e32 v4, v4, v8
	s_delay_alu instid0(VALU_DEP_1) | instskip(NEXT) | instid1(VALU_DEP_1)
	v_mul_f32_e32 v4, v4, v9
	v_fma_f32 v7, v4, v14, v15
	s_delay_alu instid0(VALU_DEP_1) | instskip(NEXT) | instid1(VALU_DEP_1)
	v_and_b32_e32 v4, 0x7f800000, v7
	v_cmp_ne_u32_e32 vcc_lo, 0x7f800000, v4
                                        ; implicit-def: $vgpr4
	s_and_saveexec_b32 s0, vcc_lo
	s_delay_alu instid0(SALU_CYCLE_1)
	s_xor_b32 s0, exec_lo, s0
; %bb.63:                               ;   in Loop: Header=BB6_43 Depth=1
	v_bfe_u32 v4, v7, 16, 1
	s_delay_alu instid0(VALU_DEP_1)
	v_add3_u32 v4, v7, v4, 0x7fff
                                        ; implicit-def: $vgpr7
; %bb.64:                               ;   in Loop: Header=BB6_43 Depth=1
	s_and_not1_saveexec_b32 s0, s0
; %bb.65:                               ;   in Loop: Header=BB6_43 Depth=1
	v_and_b32_e32 v4, 0xffff, v7
	v_or_b32_e32 v16, 0x10000, v7
	s_delay_alu instid0(VALU_DEP_2) | instskip(NEXT) | instid1(VALU_DEP_2)
	v_cmp_eq_u32_e32 vcc_lo, 0, v4
	v_cndmask_b32_e32 v4, v16, v7, vcc_lo
; %bb.66:                               ;   in Loop: Header=BB6_43 Depth=1
	s_or_b32 exec_lo, exec_lo, s0
	v_and_b32_e32 v5, 0xffff0000, v5
	s_delay_alu instid0(VALU_DEP_1) | instskip(NEXT) | instid1(VALU_DEP_1)
	v_sub_f32_e32 v5, v5, v8
	v_mul_f32_e32 v5, v5, v9
	s_delay_alu instid0(VALU_DEP_1) | instskip(NEXT) | instid1(VALU_DEP_1)
	v_fma_f32 v7, v5, v14, v15
	v_and_b32_e32 v5, 0x7f800000, v7
	s_delay_alu instid0(VALU_DEP_1) | instskip(SKIP_1) | instid1(SALU_CYCLE_1)
	v_cmp_ne_u32_e32 vcc_lo, 0x7f800000, v5
                                        ; implicit-def: $vgpr5
	s_and_saveexec_b32 s0, vcc_lo
	s_xor_b32 s0, exec_lo, s0
; %bb.67:                               ;   in Loop: Header=BB6_43 Depth=1
	v_bfe_u32 v5, v7, 16, 1
	s_delay_alu instid0(VALU_DEP_1)
	v_add3_u32 v5, v7, v5, 0x7fff
                                        ; implicit-def: $vgpr7
; %bb.68:                               ;   in Loop: Header=BB6_43 Depth=1
	s_and_not1_saveexec_b32 s0, s0
	s_cbranch_execz .LBB6_42
; %bb.69:                               ;   in Loop: Header=BB6_43 Depth=1
	v_and_b32_e32 v5, 0xffff, v7
	v_or_b32_e32 v16, 0x10000, v7
	s_delay_alu instid0(VALU_DEP_2) | instskip(NEXT) | instid1(VALU_DEP_2)
	v_cmp_eq_u32_e32 vcc_lo, 0, v5
	v_cndmask_b32_e32 v5, v16, v7, vcc_lo
	s_branch .LBB6_42
.LBB6_70:                               ;   in Loop: Header=BB6_43 Depth=1
                                        ; implicit-def: $vgpr2_vgpr3
	s_branch .LBB6_45
.LBB6_71:
	s_nop 0
	s_sendmsg sendmsg(MSG_DEALLOC_VGPRS)
	s_endpgm
.LBB6_72:
                                        ; implicit-def: $sgpr12_sgpr13
	s_branch .LBB6_2
	.section	.rodata,"a",@progbits
	.p2align	6, 0x0
	.amdhsa_kernel _ZN12_GLOBAL__N_130groupnorm_kernel_dispatch_downI14__hip_bfloat16Lj1024EEEvjjlfbPKT_S4_S4_PKfS6_PS2_
		.amdhsa_group_segment_fixed_size 256
		.amdhsa_private_segment_fixed_size 0
		.amdhsa_kernarg_size 328
		.amdhsa_user_sgpr_count 14
		.amdhsa_user_sgpr_dispatch_ptr 0
		.amdhsa_user_sgpr_queue_ptr 0
		.amdhsa_user_sgpr_kernarg_segment_ptr 1
		.amdhsa_user_sgpr_dispatch_id 0
		.amdhsa_user_sgpr_private_segment_size 0
		.amdhsa_wavefront_size32 1
		.amdhsa_uses_dynamic_stack 0
		.amdhsa_enable_private_segment 0
		.amdhsa_system_sgpr_workgroup_id_x 1
		.amdhsa_system_sgpr_workgroup_id_y 1
		.amdhsa_system_sgpr_workgroup_id_z 0
		.amdhsa_system_sgpr_workgroup_info 0
		.amdhsa_system_vgpr_workitem_id 0
		.amdhsa_next_free_vgpr 22
		.amdhsa_next_free_sgpr 28
		.amdhsa_reserve_vcc 1
		.amdhsa_float_round_mode_32 0
		.amdhsa_float_round_mode_16_64 0
		.amdhsa_float_denorm_mode_32 3
		.amdhsa_float_denorm_mode_16_64 3
		.amdhsa_dx10_clamp 1
		.amdhsa_ieee_mode 1
		.amdhsa_fp16_overflow 0
		.amdhsa_workgroup_processor_mode 1
		.amdhsa_memory_ordered 1
		.amdhsa_forward_progress 0
		.amdhsa_shared_vgpr_count 0
		.amdhsa_exception_fp_ieee_invalid_op 0
		.amdhsa_exception_fp_denorm_src 0
		.amdhsa_exception_fp_ieee_div_zero 0
		.amdhsa_exception_fp_ieee_overflow 0
		.amdhsa_exception_fp_ieee_underflow 0
		.amdhsa_exception_fp_ieee_inexact 0
		.amdhsa_exception_int_div_zero 0
	.end_amdhsa_kernel
	.section	.text._ZN12_GLOBAL__N_130groupnorm_kernel_dispatch_downI14__hip_bfloat16Lj1024EEEvjjlfbPKT_S4_S4_PKfS6_PS2_,"axG",@progbits,_ZN12_GLOBAL__N_130groupnorm_kernel_dispatch_downI14__hip_bfloat16Lj1024EEEvjjlfbPKT_S4_S4_PKfS6_PS2_,comdat
.Lfunc_end6:
	.size	_ZN12_GLOBAL__N_130groupnorm_kernel_dispatch_downI14__hip_bfloat16Lj1024EEEvjjlfbPKT_S4_S4_PKfS6_PS2_, .Lfunc_end6-_ZN12_GLOBAL__N_130groupnorm_kernel_dispatch_downI14__hip_bfloat16Lj1024EEEvjjlfbPKT_S4_S4_PKfS6_PS2_
                                        ; -- End function
	.section	.AMDGPU.csdata,"",@progbits
; Kernel info:
; codeLenInByte = 6728
; NumSgprs: 30
; NumVgprs: 22
; ScratchSize: 0
; MemoryBound: 0
; FloatMode: 240
; IeeeMode: 1
; LDSByteSize: 256 bytes/workgroup (compile time only)
; SGPRBlocks: 3
; VGPRBlocks: 2
; NumSGPRsForWavesPerEU: 30
; NumVGPRsForWavesPerEU: 22
; Occupancy: 16
; WaveLimiterHint : 0
; COMPUTE_PGM_RSRC2:SCRATCH_EN: 0
; COMPUTE_PGM_RSRC2:USER_SGPR: 14
; COMPUTE_PGM_RSRC2:TRAP_HANDLER: 0
; COMPUTE_PGM_RSRC2:TGID_X_EN: 1
; COMPUTE_PGM_RSRC2:TGID_Y_EN: 1
; COMPUTE_PGM_RSRC2:TGID_Z_EN: 0
; COMPUTE_PGM_RSRC2:TIDIG_COMP_CNT: 0
	.text
	.p2alignl 7, 3214868480
	.fill 96, 4, 3214868480
	.type	__hip_cuid_b359e5b724ce88e4,@object ; @__hip_cuid_b359e5b724ce88e4
	.section	.bss,"aw",@nobits
	.globl	__hip_cuid_b359e5b724ce88e4
__hip_cuid_b359e5b724ce88e4:
	.byte	0                               ; 0x0
	.size	__hip_cuid_b359e5b724ce88e4, 1

	.ident	"AMD clang version 19.0.0git (https://github.com/RadeonOpenCompute/llvm-project roc-6.4.0 25133 c7fe45cf4b819c5991fe208aaa96edf142730f1d)"
	.section	".note.GNU-stack","",@progbits
	.addrsig
	.addrsig_sym __hip_cuid_b359e5b724ce88e4
	.amdgpu_metadata
---
amdhsa.kernels:
  - .args:           []
    .group_segment_fixed_size: 0
    .kernarg_segment_align: 4
    .kernarg_segment_size: 0
    .language:       OpenCL C
    .language_version:
      - 2
      - 0
    .max_flat_workgroup_size: 1024
    .name:           _ZN7ck_tileL11flush_cacheEv
    .private_segment_fixed_size: 0
    .sgpr_count:     0
    .sgpr_spill_count: 0
    .symbol:         _ZN7ck_tileL11flush_cacheEv.kd
    .uniform_work_group_size: 1
    .uses_dynamic_stack: false
    .vgpr_count:     0
    .vgpr_spill_count: 0
    .wavefront_size: 32
    .workgroup_processor_mode: 1
  - .args:
      - .offset:         0
        .size:           4
        .value_kind:     by_value
      - .offset:         4
        .size:           4
        .value_kind:     by_value
      - .offset:         8
        .size:           8
        .value_kind:     by_value
      - .offset:         16
        .size:           1
        .value_kind:     by_value
      - .address_space:  global
        .offset:         24
        .size:           8
        .value_kind:     global_buffer
      - .address_space:  global
        .offset:         32
        .size:           8
        .value_kind:     global_buffer
      - .address_space:  global
        .offset:         40
        .size:           8
        .value_kind:     global_buffer
      - .offset:         48
        .size:           4
        .value_kind:     hidden_block_count_x
      - .offset:         52
        .size:           4
        .value_kind:     hidden_block_count_y
      - .offset:         56
        .size:           4
        .value_kind:     hidden_block_count_z
      - .offset:         60
        .size:           2
        .value_kind:     hidden_group_size_x
      - .offset:         62
        .size:           2
        .value_kind:     hidden_group_size_y
      - .offset:         64
        .size:           2
        .value_kind:     hidden_group_size_z
      - .offset:         66
        .size:           2
        .value_kind:     hidden_remainder_x
      - .offset:         68
        .size:           2
        .value_kind:     hidden_remainder_y
      - .offset:         70
        .size:           2
        .value_kind:     hidden_remainder_z
      - .offset:         88
        .size:           8
        .value_kind:     hidden_global_offset_x
      - .offset:         96
        .size:           8
        .value_kind:     hidden_global_offset_y
      - .offset:         104
        .size:           8
        .value_kind:     hidden_global_offset_z
      - .offset:         112
        .size:           2
        .value_kind:     hidden_grid_dims
    .group_segment_fixed_size: 256
    .kernarg_segment_align: 8
    .kernarg_segment_size: 304
    .language:       OpenCL C
    .language_version:
      - 2
      - 0
    .max_flat_workgroup_size: 1024
    .name:           _ZN12_GLOBAL__N_128groupnorm_kernel_dispatch_upIfLj1024EEEvjjlbPKT_PfS4_
    .private_segment_fixed_size: 0
    .sgpr_count:     25
    .sgpr_spill_count: 0
    .symbol:         _ZN12_GLOBAL__N_128groupnorm_kernel_dispatch_upIfLj1024EEEvjjlbPKT_PfS4_.kd
    .uniform_work_group_size: 1
    .uses_dynamic_stack: false
    .vgpr_count:     12
    .vgpr_spill_count: 0
    .wavefront_size: 32
    .workgroup_processor_mode: 1
  - .args:
      - .offset:         0
        .size:           4
        .value_kind:     by_value
      - .offset:         4
        .size:           4
        .value_kind:     by_value
      - .offset:         8
        .size:           8
        .value_kind:     by_value
      - .offset:         16
        .size:           4
        .value_kind:     by_value
      - .offset:         20
        .size:           1
        .value_kind:     by_value
      - .address_space:  global
        .offset:         24
        .size:           8
        .value_kind:     global_buffer
      - .address_space:  global
        .offset:         32
        .size:           8
        .value_kind:     global_buffer
      - .address_space:  global
        .offset:         40
        .size:           8
        .value_kind:     global_buffer
      - .address_space:  global
        .offset:         48
        .size:           8
        .value_kind:     global_buffer
      - .address_space:  global
        .offset:         56
        .size:           8
        .value_kind:     global_buffer
      - .address_space:  global
        .offset:         64
        .size:           8
        .value_kind:     global_buffer
      - .offset:         72
        .size:           4
        .value_kind:     hidden_block_count_x
      - .offset:         76
        .size:           4
        .value_kind:     hidden_block_count_y
      - .offset:         80
        .size:           4
        .value_kind:     hidden_block_count_z
      - .offset:         84
        .size:           2
        .value_kind:     hidden_group_size_x
      - .offset:         86
        .size:           2
        .value_kind:     hidden_group_size_y
      - .offset:         88
        .size:           2
        .value_kind:     hidden_group_size_z
      - .offset:         90
        .size:           2
        .value_kind:     hidden_remainder_x
      - .offset:         92
        .size:           2
        .value_kind:     hidden_remainder_y
      - .offset:         94
        .size:           2
        .value_kind:     hidden_remainder_z
      - .offset:         112
        .size:           8
        .value_kind:     hidden_global_offset_x
      - .offset:         120
        .size:           8
        .value_kind:     hidden_global_offset_y
      - .offset:         128
        .size:           8
        .value_kind:     hidden_global_offset_z
      - .offset:         136
        .size:           2
        .value_kind:     hidden_grid_dims
    .group_segment_fixed_size: 256
    .kernarg_segment_align: 8
    .kernarg_segment_size: 328
    .language:       OpenCL C
    .language_version:
      - 2
      - 0
    .max_flat_workgroup_size: 1024
    .name:           _ZN12_GLOBAL__N_130groupnorm_kernel_dispatch_downIfLj1024EEEvjjlfbPKT_S3_S3_PKfS5_PS1_
    .private_segment_fixed_size: 0
    .sgpr_count:     30
    .sgpr_spill_count: 0
    .symbol:         _ZN12_GLOBAL__N_130groupnorm_kernel_dispatch_downIfLj1024EEEvjjlfbPKT_S3_S3_PKfS5_PS1_.kd
    .uniform_work_group_size: 1
    .uses_dynamic_stack: false
    .vgpr_count:     22
    .vgpr_spill_count: 0
    .wavefront_size: 32
    .workgroup_processor_mode: 1
  - .args:
      - .offset:         0
        .size:           4
        .value_kind:     by_value
      - .offset:         4
        .size:           4
        .value_kind:     by_value
      - .offset:         8
        .size:           8
        .value_kind:     by_value
      - .offset:         16
        .size:           1
        .value_kind:     by_value
      - .address_space:  global
        .offset:         24
        .size:           8
        .value_kind:     global_buffer
      - .address_space:  global
        .offset:         32
        .size:           8
        .value_kind:     global_buffer
      - .address_space:  global
        .offset:         40
        .size:           8
        .value_kind:     global_buffer
      - .offset:         48
        .size:           4
        .value_kind:     hidden_block_count_x
      - .offset:         52
        .size:           4
        .value_kind:     hidden_block_count_y
      - .offset:         56
        .size:           4
        .value_kind:     hidden_block_count_z
      - .offset:         60
        .size:           2
        .value_kind:     hidden_group_size_x
      - .offset:         62
        .size:           2
        .value_kind:     hidden_group_size_y
      - .offset:         64
        .size:           2
        .value_kind:     hidden_group_size_z
      - .offset:         66
        .size:           2
        .value_kind:     hidden_remainder_x
      - .offset:         68
        .size:           2
        .value_kind:     hidden_remainder_y
      - .offset:         70
        .size:           2
        .value_kind:     hidden_remainder_z
      - .offset:         88
        .size:           8
        .value_kind:     hidden_global_offset_x
      - .offset:         96
        .size:           8
        .value_kind:     hidden_global_offset_y
      - .offset:         104
        .size:           8
        .value_kind:     hidden_global_offset_z
      - .offset:         112
        .size:           2
        .value_kind:     hidden_grid_dims
    .group_segment_fixed_size: 256
    .kernarg_segment_align: 8
    .kernarg_segment_size: 304
    .language:       OpenCL C
    .language_version:
      - 2
      - 0
    .max_flat_workgroup_size: 1024
    .name:           _ZN12_GLOBAL__N_128groupnorm_kernel_dispatch_upI6__halfLj1024EEEvjjlbPKT_PfS5_
    .private_segment_fixed_size: 0
    .sgpr_count:     25
    .sgpr_spill_count: 0
    .symbol:         _ZN12_GLOBAL__N_128groupnorm_kernel_dispatch_upI6__halfLj1024EEEvjjlbPKT_PfS5_.kd
    .uniform_work_group_size: 1
    .uses_dynamic_stack: false
    .vgpr_count:     12
    .vgpr_spill_count: 0
    .wavefront_size: 32
    .workgroup_processor_mode: 1
  - .args:
      - .offset:         0
        .size:           4
        .value_kind:     by_value
      - .offset:         4
        .size:           4
        .value_kind:     by_value
      - .offset:         8
        .size:           8
        .value_kind:     by_value
      - .offset:         16
        .size:           4
        .value_kind:     by_value
      - .offset:         20
        .size:           1
        .value_kind:     by_value
      - .address_space:  global
        .offset:         24
        .size:           8
        .value_kind:     global_buffer
      - .address_space:  global
        .offset:         32
        .size:           8
        .value_kind:     global_buffer
      - .address_space:  global
        .offset:         40
        .size:           8
        .value_kind:     global_buffer
      - .address_space:  global
        .offset:         48
        .size:           8
        .value_kind:     global_buffer
      - .address_space:  global
        .offset:         56
        .size:           8
        .value_kind:     global_buffer
      - .address_space:  global
        .offset:         64
        .size:           8
        .value_kind:     global_buffer
      - .offset:         72
        .size:           4
        .value_kind:     hidden_block_count_x
      - .offset:         76
        .size:           4
        .value_kind:     hidden_block_count_y
      - .offset:         80
        .size:           4
        .value_kind:     hidden_block_count_z
      - .offset:         84
        .size:           2
        .value_kind:     hidden_group_size_x
      - .offset:         86
        .size:           2
        .value_kind:     hidden_group_size_y
      - .offset:         88
        .size:           2
        .value_kind:     hidden_group_size_z
      - .offset:         90
        .size:           2
        .value_kind:     hidden_remainder_x
      - .offset:         92
        .size:           2
        .value_kind:     hidden_remainder_y
      - .offset:         94
        .size:           2
        .value_kind:     hidden_remainder_z
      - .offset:         112
        .size:           8
        .value_kind:     hidden_global_offset_x
      - .offset:         120
        .size:           8
        .value_kind:     hidden_global_offset_y
      - .offset:         128
        .size:           8
        .value_kind:     hidden_global_offset_z
      - .offset:         136
        .size:           2
        .value_kind:     hidden_grid_dims
    .group_segment_fixed_size: 256
    .kernarg_segment_align: 8
    .kernarg_segment_size: 328
    .language:       OpenCL C
    .language_version:
      - 2
      - 0
    .max_flat_workgroup_size: 1024
    .name:           _ZN12_GLOBAL__N_130groupnorm_kernel_dispatch_downI6__halfLj1024EEEvjjlfbPKT_S4_S4_PKfS6_PS2_
    .private_segment_fixed_size: 0
    .sgpr_count:     30
    .sgpr_spill_count: 0
    .symbol:         _ZN12_GLOBAL__N_130groupnorm_kernel_dispatch_downI6__halfLj1024EEEvjjlfbPKT_S4_S4_PKfS6_PS2_.kd
    .uniform_work_group_size: 1
    .uses_dynamic_stack: false
    .vgpr_count:     22
    .vgpr_spill_count: 0
    .wavefront_size: 32
    .workgroup_processor_mode: 1
  - .args:
      - .offset:         0
        .size:           4
        .value_kind:     by_value
      - .offset:         4
        .size:           4
        .value_kind:     by_value
      - .offset:         8
        .size:           8
        .value_kind:     by_value
      - .offset:         16
        .size:           1
        .value_kind:     by_value
      - .address_space:  global
        .offset:         24
        .size:           8
        .value_kind:     global_buffer
      - .address_space:  global
        .offset:         32
        .size:           8
        .value_kind:     global_buffer
      - .address_space:  global
        .offset:         40
        .size:           8
        .value_kind:     global_buffer
      - .offset:         48
        .size:           4
        .value_kind:     hidden_block_count_x
      - .offset:         52
        .size:           4
        .value_kind:     hidden_block_count_y
      - .offset:         56
        .size:           4
        .value_kind:     hidden_block_count_z
      - .offset:         60
        .size:           2
        .value_kind:     hidden_group_size_x
      - .offset:         62
        .size:           2
        .value_kind:     hidden_group_size_y
      - .offset:         64
        .size:           2
        .value_kind:     hidden_group_size_z
      - .offset:         66
        .size:           2
        .value_kind:     hidden_remainder_x
      - .offset:         68
        .size:           2
        .value_kind:     hidden_remainder_y
      - .offset:         70
        .size:           2
        .value_kind:     hidden_remainder_z
      - .offset:         88
        .size:           8
        .value_kind:     hidden_global_offset_x
      - .offset:         96
        .size:           8
        .value_kind:     hidden_global_offset_y
      - .offset:         104
        .size:           8
        .value_kind:     hidden_global_offset_z
      - .offset:         112
        .size:           2
        .value_kind:     hidden_grid_dims
    .group_segment_fixed_size: 256
    .kernarg_segment_align: 8
    .kernarg_segment_size: 304
    .language:       OpenCL C
    .language_version:
      - 2
      - 0
    .max_flat_workgroup_size: 1024
    .name:           _ZN12_GLOBAL__N_128groupnorm_kernel_dispatch_upI14__hip_bfloat16Lj1024EEEvjjlbPKT_PfS5_
    .private_segment_fixed_size: 0
    .sgpr_count:     25
    .sgpr_spill_count: 0
    .symbol:         _ZN12_GLOBAL__N_128groupnorm_kernel_dispatch_upI14__hip_bfloat16Lj1024EEEvjjlbPKT_PfS5_.kd
    .uniform_work_group_size: 1
    .uses_dynamic_stack: false
    .vgpr_count:     12
    .vgpr_spill_count: 0
    .wavefront_size: 32
    .workgroup_processor_mode: 1
  - .args:
      - .offset:         0
        .size:           4
        .value_kind:     by_value
      - .offset:         4
        .size:           4
        .value_kind:     by_value
      - .offset:         8
        .size:           8
        .value_kind:     by_value
      - .offset:         16
        .size:           4
        .value_kind:     by_value
      - .offset:         20
        .size:           1
        .value_kind:     by_value
      - .address_space:  global
        .offset:         24
        .size:           8
        .value_kind:     global_buffer
      - .address_space:  global
        .offset:         32
        .size:           8
        .value_kind:     global_buffer
      - .address_space:  global
        .offset:         40
        .size:           8
        .value_kind:     global_buffer
      - .address_space:  global
        .offset:         48
        .size:           8
        .value_kind:     global_buffer
      - .address_space:  global
        .offset:         56
        .size:           8
        .value_kind:     global_buffer
      - .address_space:  global
        .offset:         64
        .size:           8
        .value_kind:     global_buffer
      - .offset:         72
        .size:           4
        .value_kind:     hidden_block_count_x
      - .offset:         76
        .size:           4
        .value_kind:     hidden_block_count_y
      - .offset:         80
        .size:           4
        .value_kind:     hidden_block_count_z
      - .offset:         84
        .size:           2
        .value_kind:     hidden_group_size_x
      - .offset:         86
        .size:           2
        .value_kind:     hidden_group_size_y
      - .offset:         88
        .size:           2
        .value_kind:     hidden_group_size_z
      - .offset:         90
        .size:           2
        .value_kind:     hidden_remainder_x
      - .offset:         92
        .size:           2
        .value_kind:     hidden_remainder_y
      - .offset:         94
        .size:           2
        .value_kind:     hidden_remainder_z
      - .offset:         112
        .size:           8
        .value_kind:     hidden_global_offset_x
      - .offset:         120
        .size:           8
        .value_kind:     hidden_global_offset_y
      - .offset:         128
        .size:           8
        .value_kind:     hidden_global_offset_z
      - .offset:         136
        .size:           2
        .value_kind:     hidden_grid_dims
    .group_segment_fixed_size: 256
    .kernarg_segment_align: 8
    .kernarg_segment_size: 328
    .language:       OpenCL C
    .language_version:
      - 2
      - 0
    .max_flat_workgroup_size: 1024
    .name:           _ZN12_GLOBAL__N_130groupnorm_kernel_dispatch_downI14__hip_bfloat16Lj1024EEEvjjlfbPKT_S4_S4_PKfS6_PS2_
    .private_segment_fixed_size: 0
    .sgpr_count:     30
    .sgpr_spill_count: 0
    .symbol:         _ZN12_GLOBAL__N_130groupnorm_kernel_dispatch_downI14__hip_bfloat16Lj1024EEEvjjlfbPKT_S4_S4_PKfS6_PS2_.kd
    .uniform_work_group_size: 1
    .uses_dynamic_stack: false
    .vgpr_count:     22
    .vgpr_spill_count: 0
    .wavefront_size: 32
    .workgroup_processor_mode: 1
amdhsa.target:   amdgcn-amd-amdhsa--gfx1100
amdhsa.version:
  - 1
  - 2
...

	.end_amdgpu_metadata
